;; amdgpu-corpus repo=ROCm/rocFFT kind=compiled arch=gfx1201 opt=O3
	.text
	.amdgcn_target "amdgcn-amd-amdhsa--gfx1201"
	.amdhsa_code_object_version 6
	.protected	bluestein_single_fwd_len396_dim1_sp_op_CI_CI ; -- Begin function bluestein_single_fwd_len396_dim1_sp_op_CI_CI
	.globl	bluestein_single_fwd_len396_dim1_sp_op_CI_CI
	.p2align	8
	.type	bluestein_single_fwd_len396_dim1_sp_op_CI_CI,@function
bluestein_single_fwd_len396_dim1_sp_op_CI_CI: ; @bluestein_single_fwd_len396_dim1_sp_op_CI_CI
; %bb.0:
	s_load_b128 s[8:11], s[0:1], 0x28
	v_mul_u32_u24_e32 v1, 0x5d2, v0
	s_mov_b32 s2, exec_lo
	v_mov_b32_e32 v57, 0
	s_delay_alu instid0(VALU_DEP_2) | instskip(NEXT) | instid1(VALU_DEP_1)
	v_lshrrev_b32_e32 v1, 16, v1
	v_add_nc_u32_e32 v56, ttmp9, v1
	s_wait_kmcnt 0x0
	s_delay_alu instid0(VALU_DEP_1)
	v_cmpx_gt_u64_e64 s[8:9], v[56:57]
	s_cbranch_execz .LBB0_23
; %bb.1:
	s_clause 0x1
	s_load_b64 s[12:13], s[0:1], 0x0
	s_load_b64 s[8:9], s[0:1], 0x38
	v_mul_lo_u16 v1, v1, 44
	s_delay_alu instid0(VALU_DEP_1) | instskip(NEXT) | instid1(VALU_DEP_1)
	v_sub_nc_u16 v0, v0, v1
	v_and_b32_e32 v63, 0xffff, v0
	v_cmp_gt_u16_e32 vcc_lo, 36, v0
	s_delay_alu instid0(VALU_DEP_2)
	v_lshlrev_b32_e32 v64, 3, v63
	s_and_saveexec_b32 s3, vcc_lo
	s_cbranch_execz .LBB0_3
; %bb.2:
	s_load_b64 s[4:5], s[0:1], 0x18
	s_delay_alu instid0(VALU_DEP_1)
	v_add_nc_u32_e32 v46, 0x800, v64
	s_wait_kmcnt 0x0
	s_load_b128 s[4:7], s[4:5], 0x0
	s_wait_kmcnt 0x0
	v_mad_co_u64_u32 v[0:1], null, s6, v56, 0
	v_mad_co_u64_u32 v[2:3], null, s4, v63, 0
	s_delay_alu instid0(VALU_DEP_1) | instskip(NEXT) | instid1(VALU_DEP_1)
	v_mad_co_u64_u32 v[4:5], null, s7, v56, v[1:2]
	v_mad_co_u64_u32 v[5:6], null, s5, v63, v[3:4]
	v_mov_b32_e32 v1, v4
	s_mul_u64 s[4:5], s[4:5], 0x120
	s_delay_alu instid0(VALU_DEP_1) | instskip(NEXT) | instid1(VALU_DEP_3)
	v_lshlrev_b64_e32 v[0:1], 3, v[0:1]
	v_mov_b32_e32 v3, v5
	s_delay_alu instid0(VALU_DEP_1) | instskip(NEXT) | instid1(VALU_DEP_3)
	v_lshlrev_b64_e32 v[2:3], 3, v[2:3]
	v_add_co_u32 v10, s2, s10, v0
	s_delay_alu instid0(VALU_DEP_1)
	v_add_co_ci_u32_e64 v11, s2, s11, v1, s2
	s_clause 0x3
	global_load_b64 v[0:1], v64, s[12:13]
	global_load_b64 v[4:5], v64, s[12:13] offset:288
	global_load_b64 v[6:7], v64, s[12:13] offset:576
	;; [unrolled: 1-line block ×3, first 2 shown]
	v_add_co_u32 v2, s2, v10, v2
	s_wait_alu 0xf1ff
	v_add_co_ci_u32_e64 v3, s2, v11, v3, s2
	s_clause 0x3
	global_load_b64 v[12:13], v64, s[12:13] offset:1152
	global_load_b64 v[14:15], v64, s[12:13] offset:1440
	;; [unrolled: 1-line block ×4, first 2 shown]
	s_wait_alu 0xfffe
	v_add_co_u32 v10, s2, v2, s4
	s_wait_alu 0xf1ff
	v_add_co_ci_u32_e64 v11, s2, s5, v3, s2
	global_load_b64 v[22:23], v64, s[12:13] offset:2304
	v_add_co_u32 v20, s2, v10, s4
	s_wait_alu 0xf1ff
	v_add_co_ci_u32_e64 v21, s2, s5, v11, s2
	s_clause 0x1
	global_load_b64 v[2:3], v[2:3], off
	global_load_b64 v[10:11], v[10:11], off
	v_add_co_u32 v24, s2, v20, s4
	s_wait_alu 0xf1ff
	v_add_co_ci_u32_e64 v25, s2, s5, v21, s2
	s_delay_alu instid0(VALU_DEP_2) | instskip(SKIP_1) | instid1(VALU_DEP_2)
	v_add_co_u32 v26, s2, v24, s4
	s_wait_alu 0xf1ff
	v_add_co_ci_u32_e64 v27, s2, s5, v25, s2
	s_clause 0x1
	global_load_b64 v[20:21], v[20:21], off
	global_load_b64 v[24:25], v[24:25], off
	v_add_co_u32 v28, s2, v26, s4
	s_wait_alu 0xf1ff
	v_add_co_ci_u32_e64 v29, s2, s5, v27, s2
	global_load_b64 v[26:27], v[26:27], off
	v_add_co_u32 v30, s2, v28, s4
	s_wait_alu 0xf1ff
	v_add_co_ci_u32_e64 v31, s2, s5, v29, s2
	;; [unrolled: 4-line block ×6, first 2 shown]
	global_load_b64 v[36:37], v[36:37], off
	s_clause 0x1
	global_load_b64 v[40:41], v64, s[12:13] offset:2592
	global_load_b64 v[42:43], v64, s[12:13] offset:2880
	global_load_b64 v[38:39], v[38:39], off
	s_wait_loadcnt 0xc
	v_mul_f32_e32 v44, v3, v1
	v_mul_f32_e32 v45, v2, v1
	s_wait_loadcnt 0xb
	v_mul_f32_e32 v1, v11, v5
	s_delay_alu instid0(VALU_DEP_2) | instskip(NEXT) | instid1(VALU_DEP_2)
	v_fma_f32 v45, v3, v0, -v45
	v_fmac_f32_e32 v1, v10, v4
	v_fmac_f32_e32 v44, v2, v0
	s_wait_loadcnt 0xa
	v_dual_mul_f32 v0, v21, v7 :: v_dual_mul_f32 v5, v10, v5
	s_wait_loadcnt 0x9
	s_delay_alu instid0(VALU_DEP_1) | instskip(NEXT) | instid1(VALU_DEP_2)
	v_dual_mul_f32 v3, v25, v9 :: v_dual_fmac_f32 v0, v20, v6
	v_fma_f32 v2, v11, v4, -v5
	s_wait_loadcnt 0x8
	v_dual_mul_f32 v4, v20, v7 :: v_dual_mul_f32 v5, v27, v13
	ds_store_2addr_b64 v64, v[44:45], v[1:2] offset1:36
	s_wait_loadcnt 0x7
	v_dual_mul_f32 v2, v24, v9 :: v_dual_mul_f32 v7, v29, v15
	v_fma_f32 v1, v21, v6, -v4
	v_mul_f32_e32 v6, v26, v13
	s_wait_loadcnt 0x6
	v_mul_f32_e32 v9, v31, v17
	v_fma_f32 v4, v25, v8, -v2
	v_mul_f32_e32 v2, v28, v15
	v_fmac_f32_e32 v3, v24, v8
	v_fmac_f32_e32 v7, v28, v14
	;; [unrolled: 1-line block ×3, first 2 shown]
	v_fma_f32 v6, v27, v12, -v6
	v_fma_f32 v8, v29, v14, -v2
	s_wait_loadcnt 0x5
	v_dual_mul_f32 v2, v30, v17 :: v_dual_mul_f32 v11, v33, v19
	v_mul_f32_e32 v12, v32, v19
	s_wait_loadcnt 0x4
	v_mul_f32_e32 v13, v35, v23
	s_delay_alu instid0(VALU_DEP_3)
	v_fma_f32 v10, v31, v16, -v2
	v_mul_f32_e32 v2, v34, v23
	s_wait_loadcnt 0x2
	v_dual_fmac_f32 v9, v30, v16 :: v_dual_mul_f32 v16, v36, v41
	v_mul_f32_e32 v15, v37, v41
	v_fmac_f32_e32 v11, v32, v18
	v_fma_f32 v12, v33, v18, -v12
	s_wait_loadcnt 0x0
	v_mul_f32_e32 v18, v38, v43
	v_mul_f32_e32 v17, v39, v43
	v_fmac_f32_e32 v13, v34, v22
	v_fma_f32 v14, v35, v22, -v2
	v_fmac_f32_e32 v15, v36, v40
	v_fma_f32 v16, v37, v40, -v16
	;; [unrolled: 2-line block ×3, first 2 shown]
	ds_store_2addr_b64 v64, v[0:1], v[3:4] offset0:72 offset1:108
	ds_store_2addr_b64 v64, v[5:6], v[7:8] offset0:144 offset1:180
	;; [unrolled: 1-line block ×4, first 2 shown]
	ds_store_b64 v64, v[17:18] offset:2880
.LBB0_3:
	s_or_b32 exec_lo, exec_lo, s3
	s_clause 0x1
	s_load_b64 s[4:5], s[0:1], 0x20
	s_load_b64 s[2:3], s[0:1], 0x8
	v_mov_b32_e32 v4, 0
	v_mov_b32_e32 v5, 0
	global_wb scope:SCOPE_SE
	s_wait_dscnt 0x0
	s_wait_kmcnt 0x0
	s_barrier_signal -1
	s_barrier_wait -1
	global_inv scope:SCOPE_SE
                                        ; implicit-def: $vgpr10
                                        ; implicit-def: $vgpr20
                                        ; implicit-def: $vgpr2
                                        ; implicit-def: $vgpr14
                                        ; implicit-def: $vgpr18
	s_and_saveexec_b32 s0, vcc_lo
	s_cbranch_execz .LBB0_5
; %bb.4:
	v_add_nc_u32_e32 v0, 0x800, v64
	ds_load_2addr_b64 v[4:7], v64 offset1:36
	ds_load_2addr_b64 v[16:19], v64 offset0:72 offset1:108
	ds_load_2addr_b64 v[12:15], v64 offset0:144 offset1:180
	;; [unrolled: 1-line block ×4, first 2 shown]
	ds_load_b64 v[20:21], v64 offset:2880
.LBB0_5:
	s_wait_alu 0xfffe
	s_or_b32 exec_lo, exec_lo, s0
	s_wait_dscnt 0x0
	v_dual_sub_f32 v55, v7, v21 :: v_dual_add_f32 v22, v20, v6
	v_sub_f32_e32 v52, v6, v20
	v_dual_add_f32 v24, v21, v7 :: v_dual_add_f32 v23, v2, v16
	s_delay_alu instid0(VALU_DEP_3) | instskip(NEXT) | instid1(VALU_DEP_3)
	v_dual_mul_f32 v37, 0xbf0a6770, v55 :: v_dual_sub_f32 v54, v16, v2
	v_dual_mul_f32 v41, 0xbf0a6770, v52 :: v_dual_sub_f32 v60, v17, v3
	v_mul_f32_e32 v44, 0xbf68dda4, v55
	s_delay_alu instid0(VALU_DEP_3) | instskip(SKIP_1) | instid1(VALU_DEP_4)
	v_fmamk_f32 v25, v22, 0x3f575c64, v37
	v_sub_f32_e32 v62, v18, v0
	v_fma_f32 v26, 0x3f575c64, v24, -v41
	v_mul_f32_e32 v48, 0xbf68dda4, v52
	v_mul_f32_e32 v47, 0xbf4178ce, v60
	v_dual_add_f32 v28, v25, v4 :: v_dual_mul_f32 v53, 0xbf4178ce, v54
	s_delay_alu instid0(VALU_DEP_4) | instskip(NEXT) | instid1(VALU_DEP_4)
	v_add_f32_e32 v31, v26, v5
	v_fma_f32 v29, 0x3ed4b147, v24, -v48
	v_dual_mul_f32 v34, 0xbf68dda4, v60 :: v_dual_add_f32 v25, v3, v17
	v_dual_fmamk_f32 v27, v22, 0x3ed4b147, v44 :: v_dual_sub_f32 v68, v19, v1
	s_delay_alu instid0(VALU_DEP_2) | instskip(SKIP_1) | instid1(VALU_DEP_3)
	v_dual_add_f32 v29, v29, v5 :: v_dual_fmamk_f32 v30, v23, 0x3ed4b147, v34
	v_add_f32_e32 v26, v0, v18
	v_dual_add_f32 v32, v27, v4 :: v_dual_sub_f32 v69, v13, v11
	s_delay_alu instid0(VALU_DEP_3) | instskip(SKIP_4) | instid1(VALU_DEP_4)
	v_dual_add_f32 v27, v1, v19 :: v_dual_add_f32 v28, v30, v28
	v_fmamk_f32 v33, v23, 0xbf27a4f4, v47
	v_fma_f32 v35, 0xbf27a4f4, v25, -v53
	v_mul_f32_e32 v38, 0xbf68dda4, v54
	v_dual_mul_f32 v49, 0x3e903f40, v68 :: v_dual_sub_f32 v66, v12, v10
	v_dual_mul_f32 v51, 0x3f7d64f0, v69 :: v_dual_add_f32 v32, v33, v32
	s_delay_alu instid0(VALU_DEP_4) | instskip(NEXT) | instid1(VALU_DEP_4)
	v_add_f32_e32 v33, v35, v29
	v_fma_f32 v30, 0x3ed4b147, v25, -v38
	v_add_f32_e32 v29, v11, v13
	v_dual_mul_f32 v39, 0xbf7d64f0, v68 :: v_dual_mul_f32 v40, 0xbf7d64f0, v62
	v_mul_f32_e32 v58, 0x3e903f40, v62
	s_delay_alu instid0(VALU_DEP_4)
	v_add_f32_e32 v30, v30, v31
	global_wb scope:SCOPE_SE
	v_mul_f32_e32 v43, 0xbf4178ce, v66
	v_fma_f32 v31, 0xbe11bafb, v27, -v40
	s_barrier_signal -1
	s_barrier_wait -1
	global_inv scope:SCOPE_SE
	v_sub_f32_e32 v57, v15, v9
	v_dual_add_f32 v30, v31, v30 :: v_dual_fmamk_f32 v31, v26, 0xbf75a155, v49
	v_fmamk_f32 v36, v26, 0xbe11bafb, v39
	s_delay_alu instid0(VALU_DEP_3) | instskip(NEXT) | instid1(VALU_DEP_3)
	v_dual_sub_f32 v67, v14, v8 :: v_dual_mul_f32 v50, 0x3f0a6770, v57
	v_add_f32_e32 v31, v31, v32
	s_delay_alu instid0(VALU_DEP_3) | instskip(SKIP_4) | instid1(VALU_DEP_4)
	v_add_f32_e32 v35, v36, v28
	v_add_f32_e32 v28, v10, v12
	v_mul_f32_e32 v42, 0xbf4178ce, v69
	v_fma_f32 v36, 0xbf75a155, v27, -v58
	v_fma_f32 v32, 0xbf27a4f4, v29, -v43
	v_fmamk_f32 v46, v28, 0xbe11bafb, v51
	s_delay_alu instid0(VALU_DEP_4) | instskip(NEXT) | instid1(VALU_DEP_4)
	v_fmamk_f32 v45, v28, 0xbf27a4f4, v42
	v_dual_add_f32 v33, v36, v33 :: v_dual_add_f32 v36, v9, v15
	v_mul_f32_e32 v59, 0x3f7d64f0, v66
	s_delay_alu instid0(VALU_DEP_4) | instskip(NEXT) | instid1(VALU_DEP_4)
	v_dual_add_f32 v30, v32, v30 :: v_dual_add_f32 v31, v46, v31
	v_add_f32_e32 v65, v45, v35
	v_dual_add_f32 v35, v8, v14 :: v_dual_mul_f32 v46, 0xbe903f40, v67
	s_delay_alu instid0(VALU_DEP_4) | instskip(NEXT) | instid1(VALU_DEP_2)
	v_fma_f32 v32, 0xbe11bafb, v29, -v59
	v_fmamk_f32 v71, v35, 0x3f575c64, v50
	v_mul_f32_e32 v45, 0xbe903f40, v57
	s_delay_alu instid0(VALU_DEP_3) | instskip(SKIP_1) | instid1(VALU_DEP_1)
	v_add_f32_e32 v70, v32, v33
	v_fma_f32 v33, 0xbf75a155, v36, -v46
	v_dual_add_f32 v33, v33, v30 :: v_dual_add_f32 v30, v71, v31
	s_delay_alu instid0(VALU_DEP_4) | instskip(NEXT) | instid1(VALU_DEP_1)
	v_fmamk_f32 v32, v35, 0xbf75a155, v45
	v_dual_mul_f32 v61, 0x3f0a6770, v67 :: v_dual_add_f32 v32, v32, v65
	s_delay_alu instid0(VALU_DEP_1) | instskip(SKIP_1) | instid1(VALU_DEP_2)
	v_fma_f32 v72, 0x3f575c64, v36, -v61
	v_mul_lo_u16 v65, v63, 11
	v_add_f32_e32 v31, v72, v70
	s_and_saveexec_b32 s0, vcc_lo
	s_cbranch_execz .LBB0_7
; %bb.6:
	v_mul_f32_e32 v78, 0x3f0a6770, v60
	v_mul_f32_e32 v75, 0xbe903f40, v55
	;; [unrolled: 1-line block ×4, first 2 shown]
	v_dual_add_f32 v7, v7, v5 :: v_dual_add_f32 v6, v6, v4
	v_fmamk_f32 v83, v23, 0x3f575c64, v78
	v_mul_f32_e32 v70, 0xbf75a155, v24
	v_fmamk_f32 v80, v22, 0xbf75a155, v75
	v_fma_f32 v75, 0xbf75a155, v22, -v75
	v_mul_f32_e32 v72, 0xbf27a4f4, v27
	v_mul_f32_e32 v86, 0xbe903f40, v69
	v_fmamk_f32 v74, v52, 0x3e903f40, v70
	s_delay_alu instid0(VALU_DEP_4) | instskip(NEXT) | instid1(VALU_DEP_2)
	v_dual_add_f32 v6, v16, v6 :: v_dual_add_f32 v75, v75, v4
	v_add_f32_e32 v74, v74, v5
	s_delay_alu instid0(VALU_DEP_2) | instskip(NEXT) | instid1(VALU_DEP_1)
	v_dual_mul_f32 v71, 0x3f575c64, v25 :: v_dual_add_f32 v6, v18, v6
	v_dual_fmamk_f32 v79, v54, 0xbf0a6770, v71 :: v_dual_add_f32 v6, v12, v6
	s_delay_alu instid0(VALU_DEP_1) | instskip(SKIP_4) | instid1(VALU_DEP_4)
	v_dual_add_f32 v74, v79, v74 :: v_dual_add_f32 v79, v80, v4
	v_fmamk_f32 v82, v62, 0x3f4178ce, v72
	v_mul_f32_e32 v73, 0x3ed4b147, v29
	v_fmac_f32_e32 v71, 0x3f0a6770, v54
	v_fma_f32 v78, 0x3f575c64, v23, -v78
	v_dual_add_f32 v79, v83, v79 :: v_dual_add_f32 v74, v82, v74
	s_delay_alu instid0(VALU_DEP_4) | instskip(SKIP_1) | instid1(VALU_DEP_4)
	v_fmamk_f32 v84, v66, 0xbf68dda4, v73
	v_mul_f32_e32 v77, 0xbe11bafb, v36
	v_dual_mul_f32 v80, 0x3f68dda4, v69 :: v_dual_add_f32 v75, v78, v75
	v_fmac_f32_e32 v72, 0xbf4178ce, v62
	s_delay_alu instid0(VALU_DEP_4) | instskip(NEXT) | instid1(VALU_DEP_4)
	v_add_f32_e32 v74, v84, v74
	v_fmamk_f32 v82, v67, 0x3f7d64f0, v77
	v_fmac_f32_e32 v70, 0xbe903f40, v52
	v_mul_f32_e32 v81, 0xbf4178ce, v68
	v_dual_mul_f32 v84, 0xbf7d64f0, v57 :: v_dual_fmac_f32 v77, 0xbf7d64f0, v67
	s_delay_alu instid0(VALU_DEP_3) | instskip(NEXT) | instid1(VALU_DEP_3)
	v_dual_fmac_f32 v73, 0x3f68dda4, v66 :: v_dual_add_f32 v70, v70, v5
	v_fmamk_f32 v85, v26, 0xbf27a4f4, v81
	v_mul_f32_e32 v76, 0xbe11bafb, v24
	v_fma_f32 v78, 0xbf27a4f4, v26, -v81
	s_delay_alu instid0(VALU_DEP_4) | instskip(NEXT) | instid1(VALU_DEP_4)
	v_dual_fmamk_f32 v83, v28, 0x3ed4b147, v80 :: v_dual_add_f32 v70, v71, v70
	v_add_f32_e32 v79, v85, v79
	s_delay_alu instid0(VALU_DEP_4) | instskip(SKIP_2) | instid1(VALU_DEP_4)
	v_fmamk_f32 v89, v52, 0x3f7d64f0, v76
	v_mul_f32_e32 v85, 0xbe903f40, v66
	v_fmac_f32_e32 v76, 0xbf7d64f0, v52
	v_dual_add_f32 v72, v72, v70 :: v_dual_add_f32 v79, v83, v79
	v_fmamk_f32 v81, v35, 0xbe11bafb, v84
	v_add_f32_e32 v89, v89, v5
	s_delay_alu instid0(VALU_DEP_4) | instskip(NEXT) | instid1(VALU_DEP_4)
	v_dual_mul_f32 v91, 0x3ed4b147, v27 :: v_dual_add_f32 v76, v76, v5
	v_add_f32_e32 v72, v73, v72
	s_delay_alu instid0(VALU_DEP_4)
	v_dual_add_f32 v70, v81, v79 :: v_dual_mul_f32 v81, 0x3f7d64f0, v60
	v_add_f32_e32 v71, v82, v74
	v_add_f32_e32 v74, v78, v75
	v_fma_f32 v75, 0x3ed4b147, v28, -v80
	v_dual_mul_f32 v78, 0xbf4178ce, v52 :: v_dual_mul_f32 v79, 0xbf4178ce, v55
	v_dual_add_f32 v73, v77, v72 :: v_dual_mul_f32 v80, 0x3f7d64f0, v54
	s_delay_alu instid0(VALU_DEP_2)
	v_dual_add_f32 v74, v75, v74 :: v_dual_fmamk_f32 v77, v24, 0xbf27a4f4, v78
	v_fma_f32 v75, 0xbe11bafb, v35, -v84
	v_fma_f32 v83, 0xbe11bafb, v23, -v81
	v_mul_f32_e32 v84, 0xbf0a6770, v68
	v_mul_f32_e32 v82, 0xbf0a6770, v62
	v_mul_f32_e32 v68, 0x3f68dda4, v68
	v_add_f32_e32 v72, v75, v74
	v_fma_f32 v74, 0xbf27a4f4, v22, -v79
	v_add_f32_e32 v75, v77, v5
	v_fmamk_f32 v77, v25, 0xbe11bafb, v80
	v_dual_mul_f32 v57, 0xbf4178ce, v57 :: v_dual_add_f32 v14, v14, v6
	s_delay_alu instid0(VALU_DEP_2) | instskip(NEXT) | instid1(VALU_DEP_2)
	v_dual_add_f32 v74, v74, v4 :: v_dual_add_f32 v75, v77, v75
	v_dual_fmamk_f32 v77, v27, 0x3f575c64, v82 :: v_dual_add_f32 v8, v8, v14
	s_delay_alu instid0(VALU_DEP_2) | instskip(SKIP_4) | instid1(VALU_DEP_4)
	v_add_f32_e32 v74, v83, v74
	v_fma_f32 v83, 0x3f575c64, v26, -v84
	v_mul_f32_e32 v87, 0x3f68dda4, v67
	v_fmac_f32_e32 v84, 0x3f575c64, v26
	v_dual_add_f32 v8, v10, v8 :: v_dual_fmac_f32 v79, 0xbf27a4f4, v22
	v_add_f32_e32 v74, v83, v74
	v_fma_f32 v83, 0xbf75a155, v28, -v86
	v_fmac_f32_e32 v86, 0xbf75a155, v28
	s_delay_alu instid0(VALU_DEP_4) | instskip(NEXT) | instid1(VALU_DEP_3)
	v_add_f32_e32 v0, v0, v8
	v_add_f32_e32 v74, v83, v74
	v_fma_f32 v83, 0x3ed4b147, v35, -v88
	s_delay_alu instid0(VALU_DEP_3) | instskip(NEXT) | instid1(VALU_DEP_2)
	v_dual_mul_f32 v55, 0xbf7d64f0, v55 :: v_dual_add_f32 v0, v2, v0
	v_dual_add_f32 v74, v83, v74 :: v_dual_fmamk_f32 v83, v54, 0xbe903f40, v90
	v_fmac_f32_e32 v90, 0x3e903f40, v54
	v_dual_mul_f32 v54, 0x3f575c64, v29 :: v_dual_add_f32 v75, v77, v75
	v_fmamk_f32 v77, v29, 0xbf75a155, v85
	s_delay_alu instid0(VALU_DEP_4) | instskip(SKIP_2) | instid1(VALU_DEP_4)
	v_dual_mul_f32 v60, 0x3e903f40, v60 :: v_dual_add_f32 v83, v83, v89
	v_fmamk_f32 v89, v62, 0xbf68dda4, v91
	v_mul_f32_e32 v69, 0xbf0a6770, v69
	v_add_f32_e32 v75, v77, v75
	v_dual_fmamk_f32 v77, v36, 0x3ed4b147, v87 :: v_dual_add_f32 v76, v90, v76
	s_delay_alu instid0(VALU_DEP_4) | instskip(NEXT) | instid1(VALU_DEP_4)
	v_dual_fmamk_f32 v92, v23, 0xbf75a155, v60 :: v_dual_add_f32 v83, v89, v83
	v_fmamk_f32 v89, v28, 0x3f575c64, v69
	s_delay_alu instid0(VALU_DEP_3)
	v_add_f32_e32 v75, v77, v75
	v_fmac_f32_e32 v91, 0x3f68dda4, v62
	v_mul_f32_e32 v62, 0x3f575c64, v22
	v_fmamk_f32 v77, v22, 0xbe11bafb, v55
	v_fma_f32 v55, 0xbe11bafb, v22, -v55
	v_fma_f32 v60, 0xbf75a155, v23, -v60
	v_add_f32_e32 v76, v91, v76
	s_delay_alu instid0(VALU_DEP_4) | instskip(NEXT) | instid1(VALU_DEP_4)
	v_dual_mul_f32 v90, 0x3ed4b147, v22 :: v_dual_add_f32 v77, v77, v4
	v_add_f32_e32 v55, v55, v4
	v_dual_mul_f32 v91, 0xbf75a155, v35 :: v_dual_add_f32 v0, v20, v0
	s_delay_alu instid0(VALU_DEP_3) | instskip(NEXT) | instid1(VALU_DEP_4)
	v_sub_f32_e32 v44, v90, v44
	v_dual_add_f32 v52, v92, v77 :: v_dual_fmamk_f32 v77, v26, 0x3ed4b147, v68
	s_delay_alu instid0(VALU_DEP_4)
	v_add_f32_e32 v55, v60, v55
	v_fma_f32 v68, 0x3ed4b147, v26, -v68
	v_mul_f32_e32 v60, 0xbf27a4f4, v36
	v_add_f32_e32 v44, v44, v4
	v_add_f32_e32 v52, v77, v52
	v_mul_f32_e32 v92, 0x3f575c64, v35
	v_dual_add_f32 v55, v68, v55 :: v_dual_mul_f32 v68, 0xbe11bafb, v29
	s_delay_alu instid0(VALU_DEP_3) | instskip(NEXT) | instid1(VALU_DEP_3)
	v_dual_sub_f32 v37, v62, v37 :: v_dual_add_f32 v52, v89, v52
	v_dual_sub_f32 v50, v92, v50 :: v_dual_mul_f32 v89, 0x3ed4b147, v24
	v_fmamk_f32 v77, v66, 0x3f0a6770, v54
	v_fmac_f32_e32 v54, 0xbf0a6770, v66
	v_dual_mul_f32 v66, 0xbf27a4f4, v25 :: v_dual_add_f32 v59, v59, v68
	s_delay_alu instid0(VALU_DEP_3) | instskip(SKIP_1) | instid1(VALU_DEP_3)
	v_dual_add_f32 v48, v48, v89 :: v_dual_add_f32 v77, v77, v83
	v_mul_f32_e32 v83, 0x3f575c64, v24
	v_dual_add_f32 v53, v53, v66 :: v_dual_add_f32 v54, v54, v76
	s_delay_alu instid0(VALU_DEP_3) | instskip(SKIP_3) | instid1(VALU_DEP_4)
	v_add_f32_e32 v48, v48, v5
	v_mul_f32_e32 v76, 0xbf75a155, v27
	v_fma_f32 v69, 0x3f575c64, v28, -v69
	v_dual_mul_f32 v89, 0x3ed4b147, v23 :: v_dual_mul_f32 v66, 0x3ed4b147, v25
	v_dual_add_f32 v48, v53, v48 :: v_dual_mul_f32 v53, 0xbf27a4f4, v23
	s_delay_alu instid0(VALU_DEP_4) | instskip(NEXT) | instid1(VALU_DEP_4)
	v_add_f32_e32 v58, v58, v76
	v_dual_fmamk_f32 v76, v67, 0x3f4178ce, v60 :: v_dual_add_f32 v55, v69, v55
	v_fmac_f32_e32 v60, 0xbf4178ce, v67
	v_mul_f32_e32 v67, 0xbe11bafb, v26
	s_delay_alu instid0(VALU_DEP_4) | instskip(SKIP_3) | instid1(VALU_DEP_4)
	v_dual_sub_f32 v47, v53, v47 :: v_dual_add_f32 v48, v58, v48
	v_mul_f32_e32 v53, 0xbf27a4f4, v29
	v_mul_f32_e32 v90, 0xbf75a155, v26
	v_dual_mul_f32 v58, 0xbe11bafb, v27 :: v_dual_mul_f32 v69, 0xbe11bafb, v28
	v_add_f32_e32 v59, v59, v48
	v_add_f32_e32 v47, v47, v44
	s_delay_alu instid0(VALU_DEP_4) | instskip(SKIP_2) | instid1(VALU_DEP_3)
	v_dual_mul_f32 v68, 0xbf27a4f4, v28 :: v_dual_sub_f32 v49, v90, v49
	v_mul_f32_e32 v48, 0x3f575c64, v36
	v_dual_mul_f32 v90, 0xbf75a155, v36 :: v_dual_sub_f32 v51, v69, v51
	v_dual_add_f32 v38, v38, v66 :: v_dual_add_f32 v49, v49, v47
	s_delay_alu instid0(VALU_DEP_3) | instskip(SKIP_2) | instid1(VALU_DEP_4)
	v_add_f32_e32 v61, v61, v48
	v_fma_f32 v47, 0xbf27a4f4, v35, -v57
	v_add_f32_e32 v48, v60, v54
	v_dual_add_f32 v54, v41, v83 :: v_dual_add_f32 v49, v51, v49
	s_delay_alu instid0(VALU_DEP_4) | instskip(SKIP_1) | instid1(VALU_DEP_3)
	v_add_f32_e32 v41, v61, v59
	v_add_f32_e32 v37, v37, v4
	v_dual_sub_f32 v34, v89, v34 :: v_dual_add_f32 v51, v54, v5
	v_dual_add_f32 v7, v17, v7 :: v_dual_sub_f32 v18, v68, v42
	v_add_f32_e32 v4, v79, v4
	v_dual_add_f32 v44, v76, v77 :: v_dual_fmamk_f32 v57, v35, 0xbf27a4f4, v57
	s_delay_alu instid0(VALU_DEP_4) | instskip(NEXT) | instid1(VALU_DEP_4)
	v_dual_add_f32 v17, v38, v51 :: v_dual_add_f32 v38, v40, v58
	v_dual_add_f32 v34, v34, v37 :: v_dual_add_f32 v7, v19, v7
	v_sub_f32_e32 v19, v67, v39
	s_delay_alu instid0(VALU_DEP_3) | instskip(SKIP_1) | instid1(VALU_DEP_4)
	v_dual_add_f32 v47, v47, v55 :: v_dual_add_f32 v16, v38, v17
	v_add_f32_e32 v17, v43, v53
	v_add_f32_e32 v7, v13, v7
	s_delay_alu instid0(VALU_DEP_4) | instskip(SKIP_1) | instid1(VALU_DEP_3)
	v_dual_add_f32 v13, v19, v34 :: v_dual_add_f32 v40, v50, v49
	v_add_f32_e32 v43, v57, v52
	v_dual_add_f32 v16, v17, v16 :: v_dual_add_f32 v7, v15, v7
	s_delay_alu instid0(VALU_DEP_3) | instskip(SKIP_2) | instid1(VALU_DEP_4)
	v_add_f32_e32 v12, v18, v13
	v_sub_f32_e32 v13, v91, v45
	v_add_f32_e32 v15, v46, v90
	v_add_f32_e32 v9, v9, v7
	s_delay_alu instid0(VALU_DEP_3) | instskip(NEXT) | instid1(VALU_DEP_3)
	v_add_f32_e32 v6, v13, v12
	v_add_f32_e32 v7, v15, v16
	v_fma_f32 v15, 0xbf27a4f4, v24, -v78
	s_delay_alu instid0(VALU_DEP_4) | instskip(SKIP_1) | instid1(VALU_DEP_3)
	v_add_f32_e32 v9, v11, v9
	v_fma_f32 v11, 0xbe11bafb, v25, -v80
	v_add_f32_e32 v5, v15, v5
	s_delay_alu instid0(VALU_DEP_3) | instskip(SKIP_1) | instid1(VALU_DEP_3)
	v_add_f32_e32 v1, v1, v9
	v_fma_f32 v9, 0x3f575c64, v27, -v82
	v_add_f32_e32 v5, v11, v5
	v_fmac_f32_e32 v81, 0xbe11bafb, v23
	s_delay_alu instid0(VALU_DEP_4) | instskip(NEXT) | instid1(VALU_DEP_2)
	v_add_f32_e32 v1, v3, v1
	v_add_f32_e32 v3, v81, v4
	s_delay_alu instid0(VALU_DEP_4) | instskip(SKIP_1) | instid1(VALU_DEP_1)
	v_add_f32_e32 v4, v9, v5
	v_fma_f32 v5, 0xbf75a155, v29, -v85
	v_add_f32_e32 v2, v5, v4
	s_delay_alu instid0(VALU_DEP_4) | instskip(SKIP_2) | instid1(VALU_DEP_3)
	v_dual_add_f32 v3, v84, v3 :: v_dual_and_b32 v4, 0xffff, v65
	v_fma_f32 v5, 0x3ed4b147, v36, -v87
	v_fmac_f32_e32 v88, 0x3ed4b147, v35
	v_dual_add_f32 v1, v21, v1 :: v_dual_lshlrev_b32 v4, 3, v4
	s_delay_alu instid0(VALU_DEP_3) | instskip(NEXT) | instid1(VALU_DEP_1)
	v_dual_add_f32 v8, v86, v3 :: v_dual_add_f32 v3, v5, v2
	v_add_f32_e32 v2, v88, v8
	ds_store_2addr_b64 v4, v[0:1], v[6:7] offset1:1
	ds_store_2addr_b64 v4, v[40:41], v[47:48] offset0:2 offset1:3
	ds_store_2addr_b64 v4, v[74:75], v[72:73] offset0:4 offset1:5
	;; [unrolled: 1-line block ×4, first 2 shown]
	ds_store_b64 v4, v[32:33] offset:80
.LBB0_7:
	s_wait_alu 0xfffe
	s_or_b32 exec_lo, exec_lo, s0
	v_and_b32_e32 v0, 0xff, v63
	s_load_b128 s[4:7], s[4:5], 0x0
	global_wb scope:SCOPE_SE
	s_wait_dscnt 0x0
	s_wait_kmcnt 0x0
	s_barrier_signal -1
	s_barrier_wait -1
	v_mul_lo_u16 v0, 0x75, v0
	global_inv scope:SCOPE_SE
	v_cmp_gt_u16_e64 s0, 11, v63
	v_lshrrev_b16 v0, 8, v0
	s_delay_alu instid0(VALU_DEP_1) | instskip(NEXT) | instid1(VALU_DEP_1)
	v_sub_nc_u16 v1, v63, v0
	v_lshrrev_b16 v1, 1, v1
	s_delay_alu instid0(VALU_DEP_1) | instskip(NEXT) | instid1(VALU_DEP_1)
	v_and_b32_e32 v1, 0x7f, v1
	v_add_nc_u16 v0, v1, v0
	s_delay_alu instid0(VALU_DEP_1) | instskip(NEXT) | instid1(VALU_DEP_1)
	v_lshrrev_b16 v24, 3, v0
	v_mul_lo_u16 v0, v24, 11
	s_delay_alu instid0(VALU_DEP_1) | instskip(NEXT) | instid1(VALU_DEP_1)
	v_sub_nc_u16 v0, v63, v0
	v_and_b32_e32 v38, 0xff, v0
	s_delay_alu instid0(VALU_DEP_1)
	v_lshlrev_b32_e32 v0, 6, v38
	s_clause 0x3
	global_load_b128 v[12:15], v0, s[2:3]
	global_load_b128 v[8:11], v0, s[2:3] offset:16
	global_load_b128 v[4:7], v0, s[2:3] offset:32
	;; [unrolled: 1-line block ×3, first 2 shown]
	ds_load_2addr_b64 v[16:19], v64 offset1:44
	ds_load_2addr_b64 v[20:23], v64 offset0:88 offset1:132
	v_and_b32_e32 v28, 0xffff, v24
	v_add_nc_u32_e32 v67, 0x800, v64
	s_delay_alu instid0(VALU_DEP_2) | instskip(SKIP_2) | instid1(VALU_DEP_2)
	v_mul_u32_u24_e32 v39, 0x63, v28
	s_wait_loadcnt_dscnt 0x300
	v_mul_f32_e32 v41, v20, v15
	v_add_lshl_u32 v66, v39, v38, 3
	v_mul_f32_e32 v38, v19, v13
	ds_load_2addr_b64 v[24:27], v64 offset0:176 offset1:220
	ds_load_2addr_b64 v[34:37], v67 offset0:8 offset1:52
	ds_load_b64 v[28:29], v64 offset:2816
	s_wait_loadcnt 0x2
	v_mul_f32_e32 v43, v22, v9
	v_dual_mul_f32 v39, v18, v13 :: v_dual_mul_f32 v40, v21, v15
	v_mul_f32_e32 v42, v23, v9
	v_fma_f32 v18, v18, v12, -v38
	v_fmac_f32_e32 v41, v21, v14
	global_wb scope:SCOPE_SE
	s_wait_loadcnt_dscnt 0x0
	s_barrier_signal -1
	s_barrier_wait -1
	global_inv scope:SCOPE_SE
	v_fmac_f32_e32 v43, v23, v8
	v_fmac_f32_e32 v39, v19, v12
	v_fma_f32 v19, v20, v14, -v40
	v_dual_mul_f32 v44, v25, v11 :: v_dual_mul_f32 v47, v26, v5
	v_mul_f32_e32 v52, v29, v3
	v_dual_mul_f32 v45, v24, v11 :: v_dual_mul_f32 v46, v27, v5
	v_mul_f32_e32 v53, v28, v3
	v_dual_mul_f32 v48, v35, v7 :: v_dual_mul_f32 v51, v36, v1
	v_dual_mul_f32 v49, v34, v7 :: v_dual_mul_f32 v50, v37, v1
	v_fma_f32 v21, v24, v10, -v44
	v_fma_f32 v24, v28, v2, -v52
	;; [unrolled: 1-line block ×3, first 2 shown]
	v_fmac_f32_e32 v45, v25, v10
	v_fma_f32 v22, v26, v4, -v46
	v_fma_f32 v23, v34, v6, -v48
	v_fmac_f32_e32 v47, v27, v4
	v_fmac_f32_e32 v53, v29, v2
	v_fma_f32 v25, v36, v0, -v50
	v_dual_fmac_f32 v49, v35, v6 :: v_dual_add_f32 v26, v18, v24
	v_sub_f32_e32 v24, v18, v24
	s_delay_alu instid0(VALU_DEP_4) | instskip(SKIP_1) | instid1(VALU_DEP_2)
	v_dual_fmac_f32 v51, v37, v0 :: v_dual_sub_f32 v36, v39, v53
	v_dual_add_f32 v27, v39, v53 :: v_dual_sub_f32 v38, v21, v22
	v_dual_add_f32 v28, v19, v25 :: v_dual_add_f32 v29, v41, v51
	s_delay_alu instid0(VALU_DEP_4) | instskip(SKIP_1) | instid1(VALU_DEP_4)
	v_mul_f32_e32 v42, 0x3f248dbb, v24
	v_add_f32_e32 v34, v20, v23
	v_dual_sub_f32 v37, v41, v51 :: v_dual_fmamk_f32 v46, v27, 0x3f441b7d, v17
	v_dual_sub_f32 v20, v20, v23 :: v_dual_add_f32 v35, v43, v49
	v_add_f32_e32 v40, v21, v22
	v_dual_add_f32 v41, v45, v47 :: v_dual_add_f32 v52, v38, v24
	v_dual_sub_f32 v25, v19, v25 :: v_dual_fmamk_f32 v44, v26, 0x3f441b7d, v16
	s_delay_alu instid0(VALU_DEP_3) | instskip(SKIP_1) | instid1(VALU_DEP_3)
	v_dual_sub_f32 v39, v45, v47 :: v_dual_fmamk_f32 v50, v40, 0x3f441b7d, v16
	v_dual_sub_f32 v23, v43, v49 :: v_dual_mul_f32 v48, 0xbf248dbb, v38
	v_dual_fmamk_f32 v51, v41, 0x3f441b7d, v17 :: v_dual_sub_f32 v52, v52, v25
	v_dual_mul_f32 v43, 0x3f248dbb, v36 :: v_dual_add_f32 v54, v28, v26
	s_delay_alu instid0(VALU_DEP_4) | instskip(SKIP_4) | instid1(VALU_DEP_2)
	v_dual_mul_f32 v49, 0xbf248dbb, v39 :: v_dual_add_f32 v18, v34, v16
	v_dual_add_f32 v53, v39, v36 :: v_dual_mul_f32 v58, 0x3f7c1c5c, v39
	v_dual_add_f32 v19, v35, v17 :: v_dual_fmamk_f32 v60, v29, 0x3f441b7d, v17
	v_dual_add_f32 v55, v29, v27 :: v_dual_fmac_f32 v42, 0x3f7c1c5c, v25
	v_dual_mul_f32 v57, 0x3f7c1c5c, v38 :: v_dual_fmac_f32 v48, 0x3f7c1c5c, v24
	v_dual_fmamk_f32 v59, v28, 0x3f441b7d, v16 :: v_dual_add_f32 v62, v41, v55
	v_dual_fmac_f32 v44, 0x3e31d0d4, v28 :: v_dual_fmac_f32 v51, 0x3e31d0d4, v27
	v_dual_fmac_f32 v50, 0x3e31d0d4, v26 :: v_dual_sub_f32 v53, v53, v37
	v_dual_fmac_f32 v46, 0x3e31d0d4, v29 :: v_dual_add_f32 v61, v40, v54
	s_delay_alu instid0(VALU_DEP_3)
	v_dual_fmac_f32 v49, 0x3f7c1c5c, v36 :: v_dual_fmac_f32 v44, -0.5, v34
	v_fma_f32 v57, 0xbf248dbb, v25, -v57
	v_fma_f32 v58, 0xbf248dbb, v37, -v58
	v_dual_add_f32 v55, v35, v55 :: v_dual_fmac_f32 v60, 0x3e31d0d4, v41
	v_dual_fmac_f32 v59, 0x3e31d0d4, v40 :: v_dual_fmac_f32 v46, -0.5, v35
	v_dual_fmac_f32 v43, 0x3f7c1c5c, v37 :: v_dual_add_f32 v54, v34, v54
	v_dual_fmac_f32 v48, 0xbf5db3d7, v20 :: v_dual_fmac_f32 v49, 0xbf5db3d7, v23
	v_dual_fmac_f32 v50, -0.5, v34 :: v_dual_fmac_f32 v51, -0.5, v35
	v_dual_fmac_f32 v57, 0x3f5db3d7, v20 :: v_dual_fmac_f32 v58, 0x3f5db3d7, v23
	v_dual_fmac_f32 v59, -0.5, v34 :: v_dual_fmac_f32 v60, -0.5, v35
	v_dual_fmac_f32 v42, 0x3f5db3d7, v20 :: v_dual_fmac_f32 v43, 0x3f5db3d7, v23
	v_add_f32_e32 v20, v21, v54
	v_dual_add_f32 v21, v45, v55 :: v_dual_fmac_f32 v44, 0xbf708fb2, v40
	v_fmac_f32_e32 v51, 0xbf708fb2, v29
	v_dual_fmac_f32 v48, 0x3eaf1d44, v25 :: v_dual_fmac_f32 v57, 0x3eaf1d44, v24
	v_dual_fmac_f32 v46, 0xbf708fb2, v41 :: v_dual_fmac_f32 v59, 0xbf708fb2, v26
	;; [unrolled: 1-line block ×3, first 2 shown]
	s_delay_alu instid0(VALU_DEP_3)
	v_dual_fmac_f32 v60, 0xbf708fb2, v27 :: v_dual_sub_f32 v23, v51, v48
	v_dual_fmac_f32 v18, -0.5, v61 :: v_dual_fmac_f32 v19, -0.5, v62
	v_fmac_f32_e32 v42, 0x3eaf1d44, v38
	v_dual_fmac_f32 v50, 0xbf708fb2, v28 :: v_dual_add_f32 v29, v47, v21
	v_dual_fmac_f32 v43, 0x3eaf1d44, v39 :: v_dual_add_f32 v28, v22, v20
	v_dual_sub_f32 v27, v60, v57 :: v_dual_add_f32 v26, v58, v59
	v_dual_mul_f32 v68, 0x3f5db3d7, v52 :: v_dual_mul_f32 v69, 0x3f5db3d7, v53
	v_dual_fmac_f32 v18, 0x3f5db3d7, v53 :: v_dual_sub_f32 v21, v46, v42
	v_dual_fmac_f32 v19, 0xbf5db3d7, v52 :: v_dual_add_f32 v22, v49, v50
	v_dual_add_f32 v20, v43, v44 :: v_dual_add_f32 v17, v29, v17
	v_add_f32_e32 v16, v28, v16
	v_fma_f32 v36, -2.0, v58, v26
	v_fma_f32 v37, 2.0, v57, v27
	v_fma_f32 v24, -2.0, v69, v18
	v_fma_f32 v25, 2.0, v68, v19
	;; [unrolled: 2-line block ×4, first 2 shown]
	ds_store_2addr_b64 v66, v[16:17], v[20:21] offset1:11
	ds_store_2addr_b64 v66, v[22:23], v[18:19] offset0:22 offset1:33
	ds_store_2addr_b64 v66, v[26:27], v[36:37] offset0:44 offset1:55
	;; [unrolled: 1-line block ×3, first 2 shown]
	ds_store_b64 v66, v[28:29] offset:704
	global_wb scope:SCOPE_SE
	s_wait_dscnt 0x0
	s_barrier_signal -1
	s_barrier_wait -1
	global_inv scope:SCOPE_SE
	ds_load_2addr_b64 v[36:39], v64 offset1:44
	ds_load_2addr_b64 v[40:43], v64 offset0:99 offset1:143
	ds_load_2addr_b64 v[44:47], v64 offset0:198 offset1:242
	;; [unrolled: 1-line block ×3, first 2 shown]
	s_and_saveexec_b32 s1, s0
	s_cbranch_execz .LBB0_9
; %bb.8:
	ds_load_2addr_b64 v[28:31], v64 offset0:88 offset1:187
	ds_load_2addr_b64 v[32:35], v67 offset0:30 offset1:129
.LBB0_9:
	s_wait_alu 0xfffe
	s_or_b32 exec_lo, exec_lo, s1
	v_mad_co_u64_u32 v[16:17], null, v63, 24, s[2:3]
	s_clause 0x3
	global_load_b128 v[24:27], v[16:17], off offset:704
	global_load_b64 v[61:62], v[16:17], off offset:720
	global_load_b128 v[20:23], v[16:17], off offset:1760
	global_load_b64 v[59:60], v[16:17], off offset:1776
	v_add_nc_u32_e32 v16, 0x58, v63
	v_add_nc_u32_e32 v17, -11, v63
	s_delay_alu instid0(VALU_DEP_1) | instskip(NEXT) | instid1(VALU_DEP_1)
	v_cndmask_b32_e64 v16, v17, v16, s0
	v_mul_i32_i24_e32 v17, 24, v16
	v_mul_hi_i32_i24_e32 v16, 24, v16
	s_delay_alu instid0(VALU_DEP_2) | instskip(SKIP_1) | instid1(VALU_DEP_2)
	v_add_co_u32 v52, s1, s2, v17
	s_wait_alu 0xf1ff
	v_add_co_ci_u32_e64 v53, s1, s3, v16, s1
	s_clause 0x1
	global_load_b128 v[16:19], v[52:53], off offset:704
	global_load_b64 v[57:58], v[52:53], off offset:720
	s_wait_loadcnt_dscnt 0x502
	v_mul_f32_e32 v52, v41, v25
	s_wait_dscnt 0x1
	v_dual_mul_f32 v53, v40, v25 :: v_dual_mul_f32 v54, v45, v27
	s_wait_loadcnt_dscnt 0x400
	v_mul_f32_e32 v69, v48, v62
	v_dual_mul_f32 v55, v44, v27 :: v_dual_mul_f32 v68, v49, v62
	s_wait_loadcnt 0x3
	v_dual_mul_f32 v71, v42, v21 :: v_dual_mul_f32 v72, v47, v23
	v_dual_mul_f32 v70, v43, v21 :: v_dual_mul_f32 v73, v46, v23
	s_wait_loadcnt 0x2
	v_dual_mul_f32 v74, v51, v60 :: v_dual_fmac_f32 v55, v45, v26
	v_mul_f32_e32 v75, v50, v60
	v_fma_f32 v40, v40, v24, -v52
	v_fmac_f32_e32 v71, v43, v20
	v_fma_f32 v43, v46, v22, -v72
	v_fmac_f32_e32 v53, v41, v24
	v_fma_f32 v41, v44, v26, -v54
	v_fma_f32 v44, v48, v61, -v68
	v_fmac_f32_e32 v69, v49, v61
	v_fma_f32 v42, v42, v20, -v70
	v_sub_f32_e32 v46, v37, v55
	v_fmac_f32_e32 v75, v51, v59
	v_sub_f32_e32 v41, v36, v41
	v_sub_f32_e32 v44, v40, v44
	;; [unrolled: 1-line block ×3, first 2 shown]
	s_wait_loadcnt 0x1
	v_dual_mul_f32 v48, v31, v17 :: v_dual_mul_f32 v49, v33, v19
	v_mul_f32_e32 v68, v30, v17
	s_wait_loadcnt 0x0
	v_mul_f32_e32 v54, v35, v58
	v_fmac_f32_e32 v73, v47, v22
	v_dual_sub_f32 v47, v53, v69 :: v_dual_mul_f32 v70, v34, v58
	v_dual_fmac_f32 v68, v31, v16 :: v_dual_mul_f32 v69, v32, v19
	v_fma_f32 v31, v32, v18, -v49
	v_fma_f32 v45, v50, v59, -v74
	s_delay_alu instid0(VALU_DEP_4)
	v_fmac_f32_e32 v70, v35, v57
	v_fma_f32 v30, v30, v16, -v48
	v_fmac_f32_e32 v69, v33, v18
	v_fma_f32 v32, v34, v57, -v54
	v_sub_f32_e32 v34, v28, v31
	v_fma_f32 v72, v36, 2.0, -v41
	v_fma_f32 v36, v40, 2.0, -v44
	v_dual_sub_f32 v50, v41, v47 :: v_dual_sub_f32 v55, v39, v73
	v_add_f32_e32 v51, v46, v44
	v_fma_f32 v44, v38, 2.0, -v52
	v_sub_f32_e32 v43, v42, v45
	v_sub_f32_e32 v45, v71, v75
	;; [unrolled: 1-line block ×3, first 2 shown]
	v_fma_f32 v28, v28, 2.0, -v34
	v_dual_sub_f32 v31, v30, v32 :: v_dual_sub_f32 v32, v68, v70
	v_fma_f32 v73, v37, 2.0, -v46
	v_fma_f32 v37, v53, 2.0, -v47
	;; [unrolled: 1-line block ×4, first 2 shown]
	v_sub_f32_e32 v38, v52, v45
	v_sub_f32_e32 v48, v72, v36
	v_fma_f32 v47, v39, 2.0, -v55
	v_fma_f32 v29, v29, 2.0, -v35
	;; [unrolled: 1-line block ×4, first 2 shown]
	v_dual_sub_f32 v49, v73, v37 :: v_dual_sub_f32 v36, v44, v40
	v_dual_add_f32 v39, v55, v43 :: v_dual_sub_f32 v30, v34, v32
	v_sub_f32_e32 v37, v47, v53
	v_sub_f32_e32 v32, v28, v33
	;; [unrolled: 1-line block ×3, first 2 shown]
	v_add_f32_e32 v31, v35, v31
	v_fma_f32 v42, v41, 2.0, -v50
	v_fma_f32 v43, v46, 2.0, -v51
	v_fma_f32 v54, v52, 2.0, -v38
	v_fma_f32 v55, v55, 2.0, -v39
	v_fma_f32 v40, v72, 2.0, -v48
	v_fma_f32 v41, v73, 2.0, -v49
	v_fma_f32 v52, v44, 2.0, -v36
	v_fma_f32 v53, v47, 2.0, -v37
	v_fma_f32 v46, v34, 2.0, -v30
	v_fma_f32 v44, v28, 2.0, -v32
	v_fma_f32 v45, v29, 2.0, -v33
	v_fma_f32 v47, v35, 2.0, -v31
	ds_store_2addr_b64 v64, v[40:41], v[52:53] offset1:44
	ds_store_2addr_b64 v64, v[42:43], v[54:55] offset0:99 offset1:143
	ds_store_2addr_b64 v64, v[48:49], v[36:37] offset0:198 offset1:242
	;; [unrolled: 1-line block ×3, first 2 shown]
	s_and_saveexec_b32 s1, s0
	s_cbranch_execz .LBB0_11
; %bb.10:
	v_add_nc_u32_e32 v28, 0x800, v64
	ds_store_2addr_b64 v64, v[44:45], v[46:47] offset0:88 offset1:187
	ds_store_2addr_b64 v28, v[32:33], v[30:31] offset0:30 offset1:129
.LBB0_11:
	s_wait_alu 0xfffe
	s_or_b32 exec_lo, exec_lo, s1
	global_wb scope:SCOPE_SE
	s_wait_dscnt 0x0
	s_barrier_signal -1
	s_barrier_wait -1
	global_inv scope:SCOPE_SE
	s_and_saveexec_b32 s1, vcc_lo
	s_cbranch_execz .LBB0_13
; %bb.12:
	global_load_b64 v[28:29], v64, s[12:13] offset:3168
	s_add_nc_u64 s[2:3], s[12:13], 0xc60
	s_clause 0x9
	global_load_b64 v[34:35], v64, s[2:3] offset:288
	global_load_b64 v[87:88], v64, s[2:3] offset:576
	;; [unrolled: 1-line block ×10, first 2 shown]
	ds_load_b64 v[67:68], v64
	v_add_nc_u32_e32 v105, 0x400, v64
	s_wait_loadcnt_dscnt 0xa00
	v_dual_mul_f32 v69, v68, v29 :: v_dual_add_nc_u32 v106, 0x800, v64
	v_mul_f32_e32 v70, v67, v29
	s_delay_alu instid0(VALU_DEP_2) | instskip(NEXT) | instid1(VALU_DEP_2)
	v_fma_f32 v69, v67, v28, -v69
	v_fmac_f32_e32 v70, v68, v28
	ds_store_b64 v64, v[69:70]
	ds_load_2addr_b64 v[67:70], v64 offset0:36 offset1:72
	ds_load_2addr_b64 v[71:74], v64 offset0:108 offset1:144
	;; [unrolled: 1-line block ×5, first 2 shown]
	s_wait_loadcnt_dscnt 0x904
	v_mul_f32_e32 v29, v67, v35
	s_wait_loadcnt 0x8
	v_dual_mul_f32 v28, v68, v35 :: v_dual_mul_f32 v107, v70, v88
	s_wait_loadcnt_dscnt 0x703
	v_dual_mul_f32 v35, v69, v88 :: v_dual_mul_f32 v108, v72, v90
	s_wait_loadcnt 0x6
	v_dual_mul_f32 v88, v71, v90 :: v_dual_mul_f32 v109, v74, v92
	v_dual_mul_f32 v90, v73, v92 :: v_dual_fmac_f32 v29, v68, v34
	s_wait_loadcnt_dscnt 0x402
	v_dual_mul_f32 v110, v76, v94 :: v_dual_mul_f32 v111, v78, v96
	s_wait_loadcnt_dscnt 0x201
	v_dual_mul_f32 v92, v75, v94 :: v_dual_mul_f32 v113, v82, v100
	v_dual_mul_f32 v94, v77, v96 :: v_dual_fmac_f32 v35, v70, v87
	s_wait_loadcnt_dscnt 0x0
	v_dual_mul_f32 v112, v80, v98 :: v_dual_mul_f32 v115, v86, v104
	v_mul_f32_e32 v96, v79, v98
	v_mul_f32_e32 v98, v81, v100
	;; [unrolled: 1-line block ×5, first 2 shown]
	v_fma_f32 v28, v67, v34, -v28
	v_fma_f32 v34, v69, v87, -v107
	;; [unrolled: 1-line block ×3, first 2 shown]
	v_fmac_f32_e32 v88, v72, v89
	v_fma_f32 v89, v73, v91, -v109
	v_fmac_f32_e32 v90, v74, v91
	v_fma_f32 v91, v75, v93, -v110
	;; [unrolled: 2-line block ×7, first 2 shown]
	v_fmac_f32_e32 v102, v86, v103
	ds_store_2addr_b64 v64, v[28:29], v[34:35] offset0:36 offset1:72
	ds_store_2addr_b64 v64, v[87:88], v[89:90] offset0:108 offset1:144
	;; [unrolled: 1-line block ×5, first 2 shown]
.LBB0_13:
	s_wait_alu 0xfffe
	s_or_b32 exec_lo, exec_lo, s1
	global_wb scope:SCOPE_SE
	s_wait_dscnt 0x0
	s_barrier_signal -1
	s_barrier_wait -1
	global_inv scope:SCOPE_SE
	s_and_saveexec_b32 s1, vcc_lo
	s_cbranch_execz .LBB0_15
; %bb.14:
	v_add_nc_u32_e32 v28, 0x800, v64
	ds_load_2addr_b64 v[40:43], v64 offset1:36
	ds_load_2addr_b64 v[48:51], v64 offset0:72 offset1:108
	ds_load_2addr_b64 v[52:55], v64 offset0:144 offset1:180
	;; [unrolled: 1-line block ×4, first 2 shown]
	ds_load_b64 v[32:33], v64 offset:2880
.LBB0_15:
	s_wait_alu 0xfffe
	s_or_b32 exec_lo, exec_lo, s1
	s_wait_dscnt 0x0
	v_dual_sub_f32 v97, v43, v33 :: v_dual_add_f32 v90, v33, v43
	v_dual_add_f32 v67, v32, v42 :: v_dual_add_f32 v68, v46, v48
	s_delay_alu instid0(VALU_DEP_2) | instskip(NEXT) | instid1(VALU_DEP_3)
	v_dual_sub_f32 v69, v42, v32 :: v_dual_mul_f32 v78, 0xbf0a6770, v97
	v_dual_sub_f32 v99, v49, v47 :: v_dual_mul_f32 v88, 0x3ed4b147, v90
	v_dual_add_f32 v93, v47, v49 :: v_dual_mul_f32 v82, 0x3f575c64, v90
	s_delay_alu instid0(VALU_DEP_3) | instskip(NEXT) | instid1(VALU_DEP_3)
	v_fma_f32 v28, 0x3f575c64, v67, -v78
	v_dual_mul_f32 v75, 0xbf68dda4, v99 :: v_dual_sub_f32 v70, v48, v46
	v_mul_f32_e32 v85, 0xbf68dda4, v97
	s_delay_alu instid0(VALU_DEP_4) | instskip(NEXT) | instid1(VALU_DEP_4)
	v_mul_f32_e32 v92, 0xbf27a4f4, v93
	v_add_f32_e32 v28, v40, v28
	s_delay_alu instid0(VALU_DEP_4) | instskip(SKIP_3) | instid1(VALU_DEP_3)
	v_fma_f32 v71, 0x3ed4b147, v68, -v75
	v_fmamk_f32 v35, v69, 0xbf68dda4, v88
	v_fma_f32 v34, 0x3ed4b147, v67, -v85
	v_dual_fmamk_f32 v29, v69, 0xbf0a6770, v82 :: v_dual_sub_f32 v102, v51, v45
	v_dual_add_f32 v28, v71, v28 :: v_dual_add_f32 v35, v41, v35
	s_delay_alu instid0(VALU_DEP_2) | instskip(NEXT) | instid1(VALU_DEP_3)
	v_dual_add_f32 v34, v40, v34 :: v_dual_add_f32 v29, v41, v29
	v_mul_f32_e32 v80, 0xbf7d64f0, v102
	v_add_f32_e32 v71, v44, v50
	v_dual_mul_f32 v79, 0x3ed4b147, v93 :: v_dual_add_f32 v100, v45, v51
	v_dual_mul_f32 v89, 0xbf4178ce, v99 :: v_dual_sub_f32 v72, v50, v44
	s_delay_alu instid0(VALU_DEP_3) | instskip(NEXT) | instid1(VALU_DEP_3)
	v_fma_f32 v77, 0xbe11bafb, v71, -v80
	v_fmamk_f32 v73, v70, 0xbf68dda4, v79
	v_dual_mul_f32 v91, 0x3e903f40, v102 :: v_dual_sub_f32 v106, v55, v37
	s_delay_alu instid0(VALU_DEP_4) | instskip(SKIP_3) | instid1(VALU_DEP_3)
	v_fma_f32 v74, 0xbf27a4f4, v68, -v89
	v_mul_f32_e32 v81, 0xbe11bafb, v100
	v_add_f32_e32 v28, v77, v28
	v_dual_fmamk_f32 v76, v70, 0xbf4178ce, v92 :: v_dual_add_f32 v29, v73, v29
	v_dual_add_f32 v34, v74, v34 :: v_dual_fmamk_f32 v73, v72, 0xbf7d64f0, v81
	v_sub_f32_e32 v74, v52, v38
	s_delay_alu instid0(VALU_DEP_3) | instskip(SKIP_4) | instid1(VALU_DEP_4)
	v_dual_add_f32 v35, v76, v35 :: v_dual_mul_f32 v96, 0xbf75a155, v100
	v_fma_f32 v76, 0xbf75a155, v71, -v91
	v_sub_f32_e32 v105, v53, v39
	v_add_f32_e32 v29, v73, v29
	v_add_f32_e32 v103, v39, v53
	v_dual_add_f32 v73, v38, v52 :: v_dual_add_f32 v34, v76, v34
	s_delay_alu instid0(VALU_DEP_4) | instskip(NEXT) | instid1(VALU_DEP_3)
	v_dual_mul_f32 v95, 0x3f7d64f0, v105 :: v_dual_add_f32 v104, v37, v55
	v_mul_f32_e32 v84, 0xbf27a4f4, v103
	global_wb scope:SCOPE_SE
	s_barrier_signal -1
	v_fma_f32 v87, 0xbe11bafb, v73, -v95
	v_dual_mul_f32 v83, 0xbf4178ce, v105 :: v_dual_fmamk_f32 v76, v74, 0xbf4178ce, v84
	v_mul_f32_e32 v98, 0xbe11bafb, v103
	s_delay_alu instid0(VALU_DEP_3) | instskip(NEXT) | instid1(VALU_DEP_3)
	v_dual_mul_f32 v101, 0x3f575c64, v104 :: v_dual_add_f32 v34, v87, v34
	v_fma_f32 v86, 0xbf27a4f4, v73, -v83
	s_delay_alu instid0(VALU_DEP_4) | instskip(SKIP_2) | instid1(VALU_DEP_3)
	v_add_f32_e32 v29, v76, v29
	v_dual_mul_f32 v87, 0xbf75a155, v104 :: v_dual_add_f32 v76, v36, v54
	s_barrier_wait -1
	v_dual_add_f32 v28, v86, v28 :: v_dual_fmamk_f32 v77, v72, 0x3e903f40, v96
	v_mul_f32_e32 v86, 0xbe903f40, v106
	global_inv scope:SCOPE_SE
	v_dual_add_f32 v35, v77, v35 :: v_dual_mul_f32 v94, 0x3f0a6770, v106
	v_sub_f32_e32 v77, v54, v36
	s_delay_alu instid0(VALU_DEP_2) | instskip(SKIP_1) | instid1(VALU_DEP_3)
	v_fma_f32 v109, 0x3f575c64, v76, -v94
	v_fmamk_f32 v107, v74, 0x3f7d64f0, v98
	v_fmamk_f32 v110, v77, 0x3f0a6770, v101
	s_delay_alu instid0(VALU_DEP_2) | instskip(SKIP_1) | instid1(VALU_DEP_2)
	v_dual_add_f32 v34, v109, v34 :: v_dual_add_f32 v35, v107, v35
	v_fma_f32 v107, 0xbf75a155, v76, -v86
	v_dual_fmamk_f32 v108, v77, 0xbe903f40, v87 :: v_dual_add_f32 v35, v110, v35
	s_delay_alu instid0(VALU_DEP_1)
	v_dual_add_f32 v28, v107, v28 :: v_dual_add_f32 v29, v108, v29
	s_and_saveexec_b32 s1, vcc_lo
	s_cbranch_execz .LBB0_17
; %bb.16:
	v_mul_f32_e32 v131, 0xbf7d64f0, v97
	v_mul_f32_e32 v134, 0x3e903f40, v99
	;; [unrolled: 1-line block ×3, first 2 shown]
	v_dual_mul_f32 v135, 0xbf0a6770, v74 :: v_dual_mul_f32 v138, 0xbf0a6770, v105
	s_delay_alu instid0(VALU_DEP_4)
	v_fma_f32 v109, 0xbe11bafb, v67, -v131
	v_mul_f32_e32 v112, 0x3f575c64, v67
	v_fma_f32 v110, 0xbf75a155, v68, -v134
	v_mul_f32_e32 v128, 0x3e903f40, v70
	v_mul_f32_e32 v111, 0xbe903f40, v69
	v_dual_add_f32 v109, v40, v109 :: v_dual_mul_f32 v114, 0x3ed4b147, v67
	v_dual_mul_f32 v119, 0xbf4178ce, v70 :: v_dual_mul_f32 v146, 0xbf4178ce, v72
	v_mul_f32_e32 v121, 0xbf7d64f0, v72
	s_delay_alu instid0(VALU_DEP_3) | instskip(SKIP_4) | instid1(VALU_DEP_4)
	v_add_f32_e32 v109, v110, v109
	v_fma_f32 v110, 0x3ed4b147, v71, -v136
	v_mul_f32_e32 v122, 0xbf75a155, v71
	v_mul_f32_e32 v144, 0x3f0a6770, v99
	v_dual_mul_f32 v137, 0xbf4178ce, v77 :: v_dual_mul_f32 v142, 0xbf4178ce, v106
	v_add_f32_e32 v109, v110, v109
	v_fma_f32 v110, 0x3f575c64, v73, -v138
	v_fmamk_f32 v108, v93, 0xbf75a155, v128
	v_fma_f32 v147, 0x3f575c64, v68, -v144
	v_mul_f32_e32 v151, 0xbf27a4f4, v90
	v_dual_mul_f32 v149, 0x3f68dda4, v74 :: v_dual_mul_f32 v150, 0x3f68dda4, v105
	v_add_f32_e32 v141, v110, v109
	v_fmamk_f32 v109, v90, 0xbf75a155, v111
	v_fma_f32 v111, 0xbf75a155, v90, -v111
	v_mul_f32_e32 v110, 0x3f0a6770, v70
	v_mul_f32_e32 v132, 0x3f68dda4, v72
	v_dual_mul_f32 v118, 0xbf27a4f4, v68 :: v_dual_mul_f32 v125, 0xbf27a4f4, v73
	v_add_f32_e32 v109, v41, v109
	v_add_f32_e32 v111, v41, v111
	v_fmamk_f32 v145, v93, 0x3f575c64, v110
	v_fma_f32 v110, 0x3f575c64, v93, -v110
	v_mul_f32_e32 v113, 0xbf0a6770, v69
	v_dual_mul_f32 v120, 0xbe11bafb, v71 :: v_dual_mul_f32 v127, 0xbe11bafb, v73
	s_delay_alu instid0(VALU_DEP_4) | instskip(NEXT) | instid1(VALU_DEP_4)
	v_add_f32_e32 v109, v145, v109
	v_dual_fmamk_f32 v145, v100, 0xbf27a4f4, v146 :: v_dual_add_f32 v110, v110, v111
	v_fma_f32 v111, 0xbf27a4f4, v100, -v146
	v_dual_mul_f32 v123, 0xbf7d64f0, v69 :: v_dual_mul_f32 v146, 0xbf7d64f0, v106
	v_add_f32_e32 v95, v127, v95
	s_delay_alu instid0(VALU_DEP_3) | instskip(SKIP_1) | instid1(VALU_DEP_4)
	v_dual_mul_f32 v139, 0x3f575c64, v76 :: v_dual_add_f32 v110, v111, v110
	v_sub_f32_e32 v92, v92, v119
	v_fma_f32 v111, 0xbe11bafb, v76, -v146
	v_fmamk_f32 v107, v90, 0xbe11bafb, v123
	v_mul_f32_e32 v116, 0x3ed4b147, v68
	v_fma_f32 v90, 0xbe11bafb, v90, -v123
	v_fmac_f32_e32 v146, 0xbe11bafb, v76
	s_delay_alu instid0(VALU_DEP_4) | instskip(SKIP_1) | instid1(VALU_DEP_4)
	v_dual_fmac_f32 v138, 0x3f575c64, v73 :: v_dual_add_f32 v107, v41, v107
	v_mul_f32_e32 v124, 0x3e903f40, v72
	v_add_f32_e32 v90, v41, v90
	v_add_f32_e32 v109, v145, v109
	v_fmamk_f32 v145, v103, 0x3ed4b147, v149
	v_add_f32_e32 v107, v108, v107
	v_fmamk_f32 v108, v100, 0x3ed4b147, v132
	v_mul_f32_e32 v126, 0xbf4178ce, v74
	v_fma_f32 v149, 0x3ed4b147, v103, -v149
	v_dual_add_f32 v109, v145, v109 :: v_dual_mul_f32 v148, 0xbf4178ce, v102
	s_delay_alu instid0(VALU_DEP_4) | instskip(SKIP_1) | instid1(VALU_DEP_4)
	v_dual_add_f32 v107, v108, v107 :: v_dual_fmamk_f32 v108, v103, 0x3f575c64, v135
	v_fmac_f32_e32 v144, 0x3f575c64, v68
	v_add_f32_e32 v110, v149, v110
	v_mul_f32_e32 v102, 0xbf0a6770, v102
	v_fmac_f32_e32 v131, 0xbe11bafb, v67
	v_add_f32_e32 v107, v108, v107
	v_fmamk_f32 v108, v104, 0xbf27a4f4, v137
	v_dual_mul_f32 v130, 0xbf75a155, v76 :: v_dual_add_f32 v85, v114, v85
	v_fmac_f32_e32 v134, 0xbf75a155, v68
	v_add_f32_e32 v78, v112, v78
	s_delay_alu instid0(VALU_DEP_4) | instskip(NEXT) | instid1(VALU_DEP_4)
	v_dual_add_f32 v107, v108, v107 :: v_dual_mul_f32 v108, 0xbe903f40, v97
	v_dual_add_f32 v85, v40, v85 :: v_dual_add_f32 v42, v42, v40
	s_delay_alu instid0(VALU_DEP_3) | instskip(NEXT) | instid1(VALU_DEP_3)
	v_dual_add_f32 v43, v43, v41 :: v_dual_add_f32 v78, v40, v78
	v_fma_f32 v143, 0xbf75a155, v67, -v108
	s_delay_alu instid0(VALU_DEP_3) | instskip(NEXT) | instid1(VALU_DEP_2)
	v_add_f32_e32 v42, v48, v42
	v_add_f32_e32 v143, v40, v143
	v_fmac_f32_e32 v136, 0x3ed4b147, v71
	s_delay_alu instid0(VALU_DEP_3) | instskip(SKIP_1) | instid1(VALU_DEP_4)
	v_dual_add_f32 v42, v50, v42 :: v_dual_add_f32 v43, v49, v43
	v_add_f32_e32 v50, v125, v83
	v_add_f32_e32 v143, v147, v143
	v_fma_f32 v147, 0xbf27a4f4, v71, -v148
	s_delay_alu instid0(VALU_DEP_4) | instskip(SKIP_1) | instid1(VALU_DEP_3)
	v_add_f32_e32 v42, v52, v42
	v_dual_mul_f32 v140, 0x3f0a6770, v77 :: v_dual_add_f32 v43, v51, v43
	v_add_f32_e32 v143, v147, v143
	v_fma_f32 v147, 0x3ed4b147, v73, -v150
	s_delay_alu instid0(VALU_DEP_3) | instskip(NEXT) | instid1(VALU_DEP_2)
	v_dual_fmac_f32 v150, 0x3ed4b147, v73 :: v_dual_add_f32 v43, v53, v43
	v_add_f32_e32 v143, v147, v143
	v_fmac_f32_e32 v108, 0xbf75a155, v67
	v_mul_f32_e32 v115, 0xbf68dda4, v69
	s_delay_alu instid0(VALU_DEP_2) | instskip(SKIP_1) | instid1(VALU_DEP_3)
	v_dual_add_f32 v43, v55, v43 :: v_dual_add_f32 v108, v40, v108
	v_mul_f32_e32 v117, 0xbf68dda4, v70
	v_dual_mul_f32 v97, 0xbf4178ce, v97 :: v_dual_sub_f32 v88, v88, v115
	s_delay_alu instid0(VALU_DEP_3)
	v_add_f32_e32 v144, v144, v108
	v_dual_add_f32 v108, v111, v143 :: v_dual_mul_f32 v143, 0xbe11bafb, v93
	v_fma_f32 v93, 0xbf75a155, v93, -v128
	v_mul_f32_e32 v145, 0xbf7d64f0, v77
	v_mul_f32_e32 v128, 0x3ed4b147, v104
	v_dual_add_f32 v88, v41, v88 :: v_dual_mul_f32 v105, 0xbe903f40, v105
	s_delay_alu instid0(VALU_DEP_3) | instskip(SKIP_2) | instid1(VALU_DEP_4)
	v_dual_add_f32 v90, v93, v90 :: v_dual_fmamk_f32 v147, v104, 0xbe11bafb, v145
	v_fma_f32 v93, 0x3ed4b147, v100, -v132
	v_fma_f32 v145, 0xbe11bafb, v104, -v145
	v_add_f32_e32 v88, v92, v88
	s_delay_alu instid0(VALU_DEP_4) | instskip(SKIP_4) | instid1(VALU_DEP_4)
	v_dual_sub_f32 v92, v96, v124 :: v_dual_add_f32 v109, v147, v109
	v_fmac_f32_e32 v148, 0xbf27a4f4, v71
	v_mul_f32_e32 v129, 0x3f7d64f0, v74
	v_dual_fmamk_f32 v147, v70, 0xbf7d64f0, v143 :: v_dual_add_f32 v90, v93, v90
	v_fma_f32 v93, 0x3f575c64, v103, -v135
	v_add_f32_e32 v144, v148, v144
	v_mul_f32_e32 v148, 0x3f575c64, v100
	v_fmamk_f32 v100, v77, 0xbf68dda4, v128
	v_fmamk_f32 v111, v69, 0x3f4178ce, v151
	s_delay_alu instid0(VALU_DEP_4) | instskip(SKIP_2) | instid1(VALU_DEP_4)
	v_dual_mul_f32 v133, 0xbe903f40, v77 :: v_dual_add_f32 v144, v150, v144
	v_mul_f32_e32 v150, 0x3f7d64f0, v99
	v_dual_fmamk_f32 v149, v72, 0x3f0a6770, v148 :: v_dual_add_f32 v90, v93, v90
	v_add_f32_e32 v111, v41, v111
	v_add_f32_e32 v93, v40, v131
	v_dual_add_f32 v89, v118, v89 :: v_dual_add_f32 v88, v92, v88
	s_delay_alu instid0(VALU_DEP_3) | instskip(SKIP_3) | instid1(VALU_DEP_4)
	v_dual_sub_f32 v92, v98, v129 :: v_dual_add_f32 v147, v147, v111
	v_add_f32_e32 v111, v145, v110
	v_dual_fmamk_f32 v145, v67, 0xbf27a4f4, v97 :: v_dual_add_f32 v110, v146, v144
	v_mul_f32_e32 v144, 0xbf75a155, v103
	v_dual_fmamk_f32 v146, v68, 0xbe11bafb, v150 :: v_dual_add_f32 v99, v149, v147
	s_delay_alu instid0(VALU_DEP_3) | instskip(SKIP_1) | instid1(VALU_DEP_4)
	v_add_f32_e32 v145, v40, v145
	v_add_f32_e32 v93, v134, v93
	v_fmamk_f32 v123, v74, 0x3e903f40, v144
	v_fma_f32 v147, 0xbf27a4f4, v76, -v142
	v_fma_f32 v103, 0xbf27a4f4, v104, -v137
	v_dual_add_f32 v145, v146, v145 :: v_dual_fmamk_f32 v146, v71, 0x3f575c64, v102
	s_delay_alu instid0(VALU_DEP_4) | instskip(SKIP_1) | instid1(VALU_DEP_3)
	v_dual_mul_f32 v106, 0x3f68dda4, v106 :: v_dual_add_f32 v99, v123, v99
	v_dual_fmac_f32 v142, 0xbf27a4f4, v76 :: v_dual_add_f32 v93, v136, v93
	v_dual_add_f32 v145, v146, v145 :: v_dual_fmamk_f32 v146, v73, 0xbf75a155, v105
	s_delay_alu instid0(VALU_DEP_3) | instskip(SKIP_1) | instid1(VALU_DEP_4)
	v_dual_fmamk_f32 v132, v76, 0x3ed4b147, v106 :: v_dual_add_f32 v85, v89, v85
	v_add_f32_e32 v89, v122, v91
	v_add_f32_e32 v91, v138, v93
	s_delay_alu instid0(VALU_DEP_4) | instskip(SKIP_1) | instid1(VALU_DEP_4)
	v_dual_add_f32 v123, v146, v145 :: v_dual_add_f32 v100, v100, v99
	v_sub_f32_e32 v93, v101, v140
	v_dual_add_f32 v92, v92, v88 :: v_dual_add_f32 v85, v89, v85
	s_delay_alu instid0(VALU_DEP_3) | instskip(SKIP_2) | instid1(VALU_DEP_4)
	v_add_f32_e32 v99, v132, v123
	v_dual_add_f32 v89, v103, v90 :: v_dual_sub_f32 v90, v82, v113
	v_sub_f32_e32 v79, v79, v117
	v_dual_add_f32 v85, v95, v85 :: v_dual_add_f32 v88, v142, v91
	v_add_f32_e32 v91, v139, v94
	s_delay_alu instid0(VALU_DEP_4) | instskip(SKIP_2) | instid1(VALU_DEP_3)
	v_add_f32_e32 v90, v41, v90
	v_dual_fmac_f32 v143, 0x3f7d64f0, v70 :: v_dual_add_f32 v82, v93, v92
	v_dual_add_f32 v37, v37, v43 :: v_dual_fmac_f32 v144, 0xbe903f40, v74
	v_add_f32_e32 v49, v79, v90
	v_sub_f32_e32 v79, v81, v121
	v_add_f32_e32 v75, v116, v75
	v_add_f32_e32 v81, v91, v85
	v_fmac_f32_e32 v128, 0x3f68dda4, v77
	v_fmac_f32_e32 v148, 0xbf0a6770, v72
	v_dual_add_f32 v48, v79, v49 :: v_dual_sub_f32 v49, v84, v126
	s_delay_alu instid0(VALU_DEP_1) | instskip(SKIP_1) | instid1(VALU_DEP_1)
	v_dual_add_f32 v75, v75, v78 :: v_dual_add_f32 v48, v49, v48
	v_sub_f32_e32 v49, v87, v133
	v_dual_add_f32 v43, v49, v48 :: v_dual_add_f32 v48, v54, v42
	s_delay_alu instid0(VALU_DEP_1) | instskip(NEXT) | instid1(VALU_DEP_1)
	v_add_f32_e32 v36, v36, v48
	v_add_f32_e32 v36, v38, v36
	s_delay_alu instid0(VALU_DEP_1) | instskip(NEXT) | instid1(VALU_DEP_1)
	v_dual_add_f32 v36, v44, v36 :: v_dual_fmac_f32 v151, 0xbf4178ce, v69
	v_dual_add_f32 v36, v46, v36 :: v_dual_add_f32 v37, v39, v37
	v_fma_f32 v39, 0xbf27a4f4, v67, -v97
	s_delay_alu instid0(VALU_DEP_3) | instskip(SKIP_1) | instid1(VALU_DEP_4)
	v_add_f32_e32 v41, v41, v151
	v_add_f32_e32 v51, v120, v80
	v_dual_add_f32 v32, v32, v36 :: v_dual_add_f32 v37, v45, v37
	s_delay_alu instid0(VALU_DEP_4)
	v_add_f32_e32 v39, v40, v39
	v_fma_f32 v40, 0xbe11bafb, v68, -v150
	v_add_f32_e32 v38, v143, v41
	v_add_f32_e32 v51, v51, v75
	v_fma_f32 v41, 0x3ed4b147, v76, -v106
	v_add_f32_e32 v37, v47, v37
	v_dual_add_f32 v106, v147, v141 :: v_dual_add_f32 v39, v40, v39
	v_fma_f32 v40, 0x3f575c64, v71, -v102
	s_delay_alu instid0(VALU_DEP_3) | instskip(SKIP_2) | instid1(VALU_DEP_4)
	v_dual_add_f32 v38, v148, v38 :: v_dual_add_f32 v33, v33, v37
	v_add_f32_e32 v50, v50, v51
	v_add_f32_e32 v51, v130, v86
	v_dual_add_f32 v37, v40, v39 :: v_dual_and_b32 v40, 0xffff, v65
	v_fma_f32 v39, 0xbf75a155, v73, -v105
	v_add_f32_e32 v38, v144, v38
	s_delay_alu instid0(VALU_DEP_4) | instskip(NEXT) | instid1(VALU_DEP_3)
	v_add_f32_e32 v42, v51, v50
	v_dual_add_f32 v39, v39, v37 :: v_dual_lshlrev_b32 v40, 3, v40
	s_delay_alu instid0(VALU_DEP_1)
	v_dual_add_f32 v37, v128, v38 :: v_dual_add_f32 v36, v41, v39
	ds_store_2addr_b64 v40, v[32:33], v[42:43] offset1:1
	ds_store_2addr_b64 v40, v[81:82], v[88:89] offset0:2 offset1:3
	ds_store_2addr_b64 v40, v[99:100], v[110:111] offset0:4 offset1:5
	;; [unrolled: 1-line block ×4, first 2 shown]
	ds_store_b64 v40, v[28:29] offset:80
.LBB0_17:
	s_wait_alu 0xfffe
	s_or_b32 exec_lo, exec_lo, s1
	global_wb scope:SCOPE_SE
	s_wait_dscnt 0x0
	s_barrier_signal -1
	s_barrier_wait -1
	global_inv scope:SCOPE_SE
	ds_load_2addr_b64 v[37:40], v64 offset1:44
	ds_load_2addr_b64 v[41:44], v64 offset0:88 offset1:132
	ds_load_2addr_b64 v[45:48], v64 offset0:176 offset1:220
	v_add_nc_u32_e32 v36, 0x800, v64
	s_wait_dscnt 0x1
	v_dual_mul_f32 v53, v13, v40 :: v_dual_mul_f32 v54, v15, v42
	v_mul_f32_e32 v13, v13, v39
	ds_load_2addr_b64 v[49:52], v36 offset0:8 offset1:52
	ds_load_b64 v[32:33], v64 offset:2816
	v_mul_f32_e32 v55, v9, v44
	v_fmac_f32_e32 v53, v12, v39
	s_wait_dscnt 0x2
	v_mul_f32_e32 v65, v11, v46
	v_fma_f32 v12, v12, v40, -v13
	v_mul_f32_e32 v11, v11, v45
	v_dual_fmac_f32 v54, v14, v41 :: v_dual_mul_f32 v67, v5, v48
	v_mul_f32_e32 v5, v5, v47
	v_fmac_f32_e32 v65, v10, v45
	s_delay_alu instid0(VALU_DEP_4)
	v_fma_f32 v10, v10, v46, -v11
	v_mul_f32_e32 v9, v9, v43
	v_fmac_f32_e32 v67, v4, v47
	v_fma_f32 v11, v4, v48, -v5
	global_wb scope:SCOPE_SE
	s_wait_dscnt 0x0
	s_barrier_signal -1
	s_barrier_wait -1
	global_inv scope:SCOPE_SE
	v_dual_sub_f32 v46, v10, v11 :: v_dual_mul_f32 v5, v7, v49
	v_mul_f32_e32 v4, v3, v33
	v_dual_mul_f32 v15, v15, v41 :: v_dual_add_f32 v48, v10, v11
	s_delay_alu instid0(VALU_DEP_3) | instskip(NEXT) | instid1(VALU_DEP_3)
	v_fma_f32 v5, v6, v50, -v5
	v_fmac_f32_e32 v4, v2, v32
	v_mul_f32_e32 v3, v3, v32
	s_delay_alu instid0(VALU_DEP_4) | instskip(NEXT) | instid1(VALU_DEP_3)
	v_fma_f32 v13, v14, v42, -v15
	v_sub_f32_e32 v14, v53, v4
	s_delay_alu instid0(VALU_DEP_3) | instskip(NEXT) | instid1(VALU_DEP_1)
	v_fma_f32 v2, v2, v33, -v3
	v_sub_f32_e32 v39, v12, v2
	v_add_f32_e32 v12, v12, v2
	s_delay_alu instid0(VALU_DEP_2) | instskip(SKIP_4) | instid1(VALU_DEP_3)
	v_mul_f32_e32 v2, 0x3f248dbb, v39
	v_fmac_f32_e32 v55, v8, v43
	v_fma_f32 v8, v8, v44, -v9
	v_mul_f32_e32 v9, v7, v50
	v_dual_add_f32 v15, v53, v4 :: v_dual_mul_f32 v4, 0x3f248dbb, v14
	v_sub_f32_e32 v44, v8, v5
	v_dual_add_f32 v8, v8, v5 :: v_dual_mul_f32 v7, v1, v52
	s_delay_alu instid0(VALU_DEP_1) | instskip(NEXT) | instid1(VALU_DEP_1)
	v_fmac_f32_e32 v7, v0, v51
	v_add_f32_e32 v42, v54, v7
	v_mul_f32_e32 v1, v1, v51
	v_dual_sub_f32 v40, v54, v7 :: v_dual_fmamk_f32 v7, v48, 0x3f441b7d, v38
	s_delay_alu instid0(VALU_DEP_3) | instskip(NEXT) | instid1(VALU_DEP_3)
	v_add_f32_e32 v50, v42, v15
	v_fma_f32 v0, v0, v52, -v1
	s_delay_alu instid0(VALU_DEP_3) | instskip(NEXT) | instid1(VALU_DEP_2)
	v_dual_fmac_f32 v4, 0x3f7c1c5c, v40 :: v_dual_fmac_f32 v9, v6, v49
	v_dual_mul_f32 v6, 0xbf248dbb, v46 :: v_dual_sub_f32 v41, v13, v0
	v_dual_add_f32 v13, v13, v0 :: v_dual_fmamk_f32 v0, v15, 0x3f441b7d, v37
	s_delay_alu instid0(VALU_DEP_2) | instskip(NEXT) | instid1(VALU_DEP_2)
	v_fmac_f32_e32 v2, 0x3f7c1c5c, v41
	v_dual_sub_f32 v43, v55, v9 :: v_dual_fmac_f32 v0, 0x3e31d0d4, v42
	s_delay_alu instid0(VALU_DEP_3) | instskip(NEXT) | instid1(VALU_DEP_3)
	v_add_f32_e32 v52, v13, v12
	v_fmac_f32_e32 v2, 0x3f5db3d7, v44
	s_delay_alu instid0(VALU_DEP_3) | instskip(NEXT) | instid1(VALU_DEP_2)
	v_fmac_f32_e32 v4, 0x3f5db3d7, v43
	v_dual_fmac_f32 v2, 0x3eaf1d44, v46 :: v_dual_add_f32 v47, v65, v67
	v_add_f32_e32 v9, v55, v9
	s_delay_alu instid0(VALU_DEP_1) | instskip(SKIP_1) | instid1(VALU_DEP_1)
	v_dual_add_f32 v55, v48, v52 :: v_dual_fmac_f32 v0, -0.5, v9
	v_dual_add_f32 v49, v46, v39 :: v_dual_mul_f32 v46, 0x3f7c1c5c, v46
	v_dual_fmac_f32 v0, 0xbf708fb2, v47 :: v_dual_sub_f32 v49, v49, v41
	s_delay_alu instid0(VALU_DEP_1) | instskip(NEXT) | instid1(VALU_DEP_1)
	v_dual_sub_f32 v0, v0, v2 :: v_dual_fmamk_f32 v3, v47, 0x3f441b7d, v37
	v_fma_f32 v32, 2.0, v2, v0
	s_delay_alu instid0(VALU_DEP_2) | instskip(NEXT) | instid1(VALU_DEP_1)
	v_fmac_f32_e32 v3, 0x3e31d0d4, v15
	v_dual_fmac_f32 v6, 0x3f7c1c5c, v39 :: v_dual_fmac_f32 v3, -0.5, v9
	s_delay_alu instid0(VALU_DEP_1) | instskip(NEXT) | instid1(VALU_DEP_2)
	v_dual_sub_f32 v45, v65, v67 :: v_dual_fmac_f32 v6, 0xbf5db3d7, v44
	v_fmac_f32_e32 v3, 0xbf708fb2, v42
	s_delay_alu instid0(VALU_DEP_2) | instskip(NEXT) | instid1(VALU_DEP_3)
	v_mul_f32_e32 v5, 0xbf248dbb, v45
	v_fmac_f32_e32 v6, 0x3eaf1d44, v41
	v_dual_fmamk_f32 v1, v12, 0x3f441b7d, v38 :: v_dual_fmamk_f32 v42, v42, 0x3f441b7d, v37
	v_fmac_f32_e32 v7, 0x3e31d0d4, v12
	v_fmac_f32_e32 v4, 0x3eaf1d44, v45
	s_delay_alu instid0(VALU_DEP_3) | instskip(NEXT) | instid1(VALU_DEP_4)
	v_dual_sub_f32 v2, v3, v6 :: v_dual_fmac_f32 v1, 0x3e31d0d4, v13
	v_fmac_f32_e32 v42, 0x3e31d0d4, v47
	v_fmac_f32_e32 v5, 0x3f7c1c5c, v14
	v_fmac_f32_e32 v7, -0.5, v8
	v_fma_f32 v41, 0xbf248dbb, v41, -v46
	s_delay_alu instid0(VALU_DEP_4) | instskip(NEXT) | instid1(VALU_DEP_4)
	v_dual_fmac_f32 v1, -0.5, v8 :: v_dual_fmac_f32 v42, -0.5, v9
	v_fmac_f32_e32 v5, 0xbf5db3d7, v43
	s_delay_alu instid0(VALU_DEP_4) | instskip(SKIP_4) | instid1(VALU_DEP_4)
	v_fmac_f32_e32 v7, 0xbf708fb2, v13
	v_fmamk_f32 v13, v13, 0x3f441b7d, v38
	v_fmac_f32_e32 v41, 0x3f5db3d7, v44
	v_fmac_f32_e32 v42, 0xbf708fb2, v15
	;; [unrolled: 1-line block ×4, first 2 shown]
	s_delay_alu instid0(VALU_DEP_4) | instskip(NEXT) | instid1(VALU_DEP_3)
	v_fmac_f32_e32 v41, 0x3eaf1d44, v39
	v_add_f32_e32 v3, v5, v7
	v_add_f32_e32 v7, v45, v14
	v_mul_f32_e32 v45, 0x3f7c1c5c, v45
	v_fmac_f32_e32 v13, -0.5, v8
	s_delay_alu instid0(VALU_DEP_3) | instskip(NEXT) | instid1(VALU_DEP_3)
	v_sub_f32_e32 v51, v7, v40
	v_fma_f32 v40, 0xbf248dbb, v40, -v45
	v_add_f32_e32 v7, v8, v38
	s_delay_alu instid0(VALU_DEP_4) | instskip(NEXT) | instid1(VALU_DEP_3)
	v_fmac_f32_e32 v13, 0xbf708fb2, v12
	v_dual_fmac_f32 v40, 0x3f5db3d7, v43 :: v_dual_add_f32 v43, v8, v52
	v_fmac_f32_e32 v1, 0xbf708fb2, v48
	s_delay_alu instid0(VALU_DEP_2) | instskip(NEXT) | instid1(VALU_DEP_2)
	v_dual_fmac_f32 v7, -0.5, v55 :: v_dual_fmac_f32 v40, 0x3eaf1d44, v14
	v_dual_add_f32 v10, v10, v43 :: v_dual_add_f32 v1, v4, v1
	v_add_f32_e32 v14, v9, v50
	v_fma_f32 v5, -2.0, v5, v3
	s_delay_alu instid0(VALU_DEP_3)
	v_fma_f32 v33, -2.0, v4, v1
	v_fma_f32 v4, 2.0, v6, v2
	v_add_f32_e32 v6, v9, v37
	v_add_f32_e32 v9, v65, v14
	v_add_f32_e32 v14, v11, v10
	v_sub_f32_e32 v10, v42, v41
	v_dual_add_f32 v11, v40, v13 :: v_dual_mul_f32 v54, 0x3f5db3d7, v51
	s_delay_alu instid0(VALU_DEP_4)
	v_add_f32_e32 v12, v67, v9
	v_add_f32_e32 v53, v47, v50
	v_fmac_f32_e32 v7, 0x3f5db3d7, v51
	v_add_f32_e32 v13, v14, v38
	v_fma_f32 v14, 2.0, v41, v10
	v_add_f32_e32 v12, v12, v37
	v_fmac_f32_e32 v6, -0.5, v53
	v_mul_f32_e32 v53, 0x3f5db3d7, v49
	v_fma_f32 v15, -2.0, v40, v11
	v_fma_f32 v9, -2.0, v54, v7
	s_delay_alu instid0(VALU_DEP_4) | instskip(NEXT) | instid1(VALU_DEP_1)
	v_fmac_f32_e32 v6, 0xbf5db3d7, v49
	v_fma_f32 v8, 2.0, v53, v6
	ds_store_2addr_b64 v66, v[12:13], v[0:1] offset1:11
	ds_store_2addr_b64 v66, v[2:3], v[6:7] offset0:22 offset1:33
	ds_store_2addr_b64 v66, v[10:11], v[14:15] offset0:44 offset1:55
	ds_store_2addr_b64 v66, v[8:9], v[4:5] offset0:66 offset1:77
	ds_store_b64 v66, v[32:33] offset:704
	global_wb scope:SCOPE_SE
	s_wait_dscnt 0x0
	s_barrier_signal -1
	s_barrier_wait -1
	global_inv scope:SCOPE_SE
	ds_load_2addr_b64 v[0:3], v64 offset1:44
	ds_load_2addr_b64 v[12:15], v64 offset0:99 offset1:143
	ds_load_2addr_b64 v[4:7], v64 offset0:198 offset1:242
	;; [unrolled: 1-line block ×3, first 2 shown]
	s_and_saveexec_b32 s1, s0
	s_cbranch_execz .LBB0_19
; %bb.18:
	ds_load_2addr_b64 v[32:35], v64 offset0:88 offset1:187
	ds_load_2addr_b64 v[28:31], v36 offset0:30 offset1:129
.LBB0_19:
	s_wait_alu 0xfffe
	s_or_b32 exec_lo, exec_lo, s1
	s_wait_dscnt 0x1
	v_mul_f32_e32 v38, v27, v5
	v_mul_f32_e32 v37, v25, v13
	;; [unrolled: 1-line block ×4, first 2 shown]
	s_delay_alu instid0(VALU_DEP_4)
	v_fmac_f32_e32 v38, v26, v4
	s_wait_dscnt 0x0
	v_dual_fmac_f32 v37, v24, v12 :: v_dual_mul_f32 v4, v62, v9
	v_fma_f32 v12, v24, v13, -v25
	v_dual_mul_f32 v24, v21, v15 :: v_dual_mul_f32 v13, v62, v8
	v_fma_f32 v5, v26, v5, -v27
	s_delay_alu instid0(VALU_DEP_4) | instskip(SKIP_1) | instid1(VALU_DEP_4)
	v_fmac_f32_e32 v4, v61, v8
	v_mul_f32_e32 v8, v23, v7
	v_fmac_f32_e32 v24, v20, v14
	v_fma_f32 v9, v61, v9, -v13
	v_mul_f32_e32 v21, v21, v14
	s_delay_alu instid0(VALU_DEP_1)
	v_fma_f32 v13, v20, v15, -v21
	v_dual_sub_f32 v15, v37, v4 :: v_dual_fmac_f32 v8, v22, v6
	v_mul_f32_e32 v4, v23, v6
	v_dual_sub_f32 v20, v1, v5 :: v_dual_mul_f32 v21, v60, v10
	v_sub_f32_e32 v6, v12, v9
	v_mul_f32_e32 v9, v60, v11
	s_delay_alu instid0(VALU_DEP_3) | instskip(NEXT) | instid1(VALU_DEP_3)
	v_fma_f32 v23, v1, 2.0, -v20
	v_fma_f32 v1, v12, 2.0, -v6
	v_sub_f32_e32 v14, v0, v38
	s_delay_alu instid0(VALU_DEP_4) | instskip(SKIP_1) | instid1(VALU_DEP_4)
	v_fmac_f32_e32 v9, v59, v10
	v_fma_f32 v10, v59, v11, -v21
	v_sub_f32_e32 v1, v23, v1
	s_delay_alu instid0(VALU_DEP_4)
	v_fma_f32 v5, v0, 2.0, -v14
	v_fma_f32 v0, v37, 2.0, -v15
	v_sub_f32_e32 v11, v24, v9
	v_sub_f32_e32 v21, v2, v8
	v_fma_f32 v7, v22, v7, -v4
	v_sub_f32_e32 v10, v13, v10
	v_sub_f32_e32 v0, v5, v0
	v_add_f32_e32 v6, v14, v6
	v_fma_f32 v12, v2, 2.0, -v21
	s_delay_alu instid0(VALU_DEP_4)
	v_fma_f32 v9, v13, 2.0, -v10
	v_sub_f32_e32 v22, v3, v7
	v_sub_f32_e32 v7, v20, v15
	v_fma_f32 v4, v5, 2.0, -v0
	v_fma_f32 v5, v23, 2.0, -v1
	;; [unrolled: 1-line block ×5, first 2 shown]
	s_delay_alu instid0(VALU_DEP_1) | instskip(SKIP_2) | instid1(VALU_DEP_3)
	v_dual_sub_f32 v9, v25, v9 :: v_dual_sub_f32 v8, v12, v3
	v_dual_add_f32 v10, v21, v10 :: v_dual_sub_f32 v11, v22, v11
	v_fma_f32 v3, v20, 2.0, -v7
	v_fma_f32 v13, v25, 2.0, -v9
	s_delay_alu instid0(VALU_DEP_4) | instskip(NEXT) | instid1(VALU_DEP_4)
	v_fma_f32 v12, v12, 2.0, -v8
	v_fma_f32 v14, v21, 2.0, -v10
	;; [unrolled: 1-line block ×3, first 2 shown]
	ds_store_2addr_b64 v64, v[4:5], v[12:13] offset1:44
	ds_store_2addr_b64 v64, v[2:3], v[14:15] offset0:99 offset1:143
	ds_store_2addr_b64 v64, v[0:1], v[8:9] offset0:198 offset1:242
	;; [unrolled: 1-line block ×3, first 2 shown]
	s_and_saveexec_b32 s1, s0
	s_cbranch_execz .LBB0_21
; %bb.20:
	v_dual_mul_f32 v0, v19, v28 :: v_dual_mul_f32 v1, v17, v35
	v_dual_mul_f32 v2, v19, v29 :: v_dual_mul_f32 v3, v17, v34
	s_delay_alu instid0(VALU_DEP_2) | instskip(SKIP_1) | instid1(VALU_DEP_3)
	v_fma_f32 v0, v18, v29, -v0
	v_mul_f32_e32 v5, v58, v31
	v_dual_fmac_f32 v1, v16, v34 :: v_dual_fmac_f32 v2, v18, v28
	s_delay_alu instid0(VALU_DEP_4) | instskip(NEXT) | instid1(VALU_DEP_4)
	v_fma_f32 v3, v16, v35, -v3
	v_sub_f32_e32 v6, v33, v0
	s_delay_alu instid0(VALU_DEP_1) | instskip(SKIP_1) | instid1(VALU_DEP_1)
	v_fma_f32 v7, v33, 2.0, -v6
	v_mul_f32_e32 v4, v58, v30
	v_fma_f32 v4, v57, v31, -v4
	s_delay_alu instid0(VALU_DEP_1) | instskip(SKIP_1) | instid1(VALU_DEP_2)
	v_dual_fmac_f32 v5, v57, v30 :: v_dual_sub_f32 v0, v3, v4
	v_sub_f32_e32 v4, v32, v2
	v_sub_f32_e32 v2, v1, v5
	s_delay_alu instid0(VALU_DEP_3) | instskip(NEXT) | instid1(VALU_DEP_3)
	v_fma_f32 v3, v3, 2.0, -v0
	v_fma_f32 v8, v32, 2.0, -v4
	s_delay_alu instid0(VALU_DEP_3) | instskip(SKIP_1) | instid1(VALU_DEP_2)
	v_fma_f32 v5, v1, 2.0, -v2
	v_dual_sub_f32 v1, v6, v2 :: v_dual_add_f32 v0, v4, v0
	v_dual_sub_f32 v3, v7, v3 :: v_dual_sub_f32 v2, v8, v5
	s_delay_alu instid0(VALU_DEP_2) | instskip(NEXT) | instid1(VALU_DEP_3)
	v_fma_f32 v5, v6, 2.0, -v1
	v_fma_f32 v4, v4, 2.0, -v0
	s_delay_alu instid0(VALU_DEP_3) | instskip(NEXT) | instid1(VALU_DEP_4)
	v_fma_f32 v7, v7, 2.0, -v3
	v_fma_f32 v6, v8, 2.0, -v2
	v_add_nc_u32_e32 v8, 0x800, v64
	ds_store_2addr_b64 v64, v[6:7], v[4:5] offset0:88 offset1:187
	ds_store_2addr_b64 v8, v[2:3], v[0:1] offset0:30 offset1:129
.LBB0_21:
	s_wait_alu 0xfffe
	s_or_b32 exec_lo, exec_lo, s1
	global_wb scope:SCOPE_SE
	s_wait_dscnt 0x0
	s_barrier_signal -1
	s_barrier_wait -1
	global_inv scope:SCOPE_SE
	s_and_b32 exec_lo, exec_lo, vcc_lo
	s_cbranch_execz .LBB0_23
; %bb.22:
	s_clause 0xa
	global_load_b64 v[20:21], v64, s[12:13]
	global_load_b64 v[22:23], v64, s[12:13] offset:288
	global_load_b64 v[24:25], v64, s[12:13] offset:576
	;; [unrolled: 1-line block ×10, first 2 shown]
	v_mad_co_u64_u32 v[42:43], null, s6, v56, 0
	ds_load_b64 v[44:45], v64
	ds_load_2addr_b64 v[0:3], v64 offset0:36 offset1:72
	v_mad_co_u64_u32 v[46:47], null, s4, v63, 0
	ds_load_2addr_b64 v[4:7], v64 offset0:108 offset1:144
	v_add_nc_u32_e32 v16, 0x800, v64
	v_dual_mov_b32 v12, v43 :: v_dual_add_nc_u32 v13, 0x400, v64
	ds_load_2addr_b64 v[8:11], v64 offset0:180 offset1:216
	s_mov_b32 s0, 0xa052bf5b
	v_mov_b32_e32 v43, v47
	s_mov_b32 s1, 0x3f64afd6
	v_mad_co_u64_u32 v[48:49], null, s7, v56, v[12:13]
	ds_load_2addr_b64 v[12:15], v13 offset0:124 offset1:160
	ds_load_2addr_b64 v[16:19], v16 offset0:68 offset1:104
	s_mul_u64 s[2:3], s[4:5], 0x120
	s_wait_dscnt 0x5
	v_mad_co_u64_u32 v[49:50], null, s5, v63, v[43:44]
	s_wait_loadcnt_dscnt 0x904
	v_dual_mov_b32 v43, v48 :: v_dual_mul_f32 v48, v1, v23
	v_mul_f32_e32 v47, v45, v21
	s_wait_loadcnt 0x8
	v_dual_mul_f32 v23, v0, v23 :: v_dual_mul_f32 v50, v3, v25
	v_mul_f32_e32 v21, v44, v21
	v_mul_f32_e32 v25, v2, v25
	s_wait_loadcnt_dscnt 0x603
	v_dual_mul_f32 v51, v5, v27 :: v_dual_mul_f32 v52, v7, v29
	s_wait_loadcnt_dscnt 0x402
	v_dual_mul_f32 v27, v4, v27 :: v_dual_mul_f32 v54, v11, v33
	v_mul_f32_e32 v29, v6, v29
	s_wait_loadcnt_dscnt 0x201
	v_dual_mul_f32 v53, v9, v31 :: v_dual_mul_f32 v56, v15, v37
	s_wait_loadcnt_dscnt 0x0
	v_dual_mul_f32 v31, v8, v31 :: v_dual_mul_f32 v58, v19, v41
	v_fmac_f32_e32 v48, v0, v22
	v_fmac_f32_e32 v47, v44, v20
	;; [unrolled: 1-line block ×3, first 2 shown]
	v_fma_f32 v20, v20, v45, -v21
	v_mul_f32_e32 v33, v10, v33
	v_fma_f32 v21, v22, v1, -v23
	v_dual_mul_f32 v55, v13, v35 :: v_dual_fmac_f32 v52, v6, v28
	v_dual_mul_f32 v35, v12, v35 :: v_dual_fmac_f32 v54, v10, v32
	v_fma_f32 v22, v24, v3, -v25
	v_mul_f32_e32 v37, v14, v37
	v_fmac_f32_e32 v51, v4, v26
	v_fma_f32 v23, v26, v5, -v27
	v_dual_mul_f32 v57, v17, v39 :: v_dual_fmac_f32 v56, v14, v36
	v_dual_mul_f32 v39, v16, v39 :: v_dual_fmac_f32 v58, v18, v40
	v_mul_f32_e32 v41, v18, v41
	v_fma_f32 v24, v28, v7, -v29
	v_fmac_f32_e32 v53, v8, v30
	v_fma_f32 v25, v30, v9, -v31
	v_cvt_f64_f32_e32 v[0:1], v47
	v_cvt_f64_f32_e32 v[2:3], v20
	v_fma_f32 v26, v32, v11, -v33
	v_cvt_f64_f32_e32 v[4:5], v48
	v_cvt_f64_f32_e32 v[6:7], v21
	v_fmac_f32_e32 v55, v12, v34
	v_fma_f32 v30, v34, v13, -v35
	v_cvt_f64_f32_e32 v[8:9], v50
	v_cvt_f64_f32_e32 v[10:11], v22
	v_fma_f32 v34, v36, v15, -v37
	v_cvt_f64_f32_e32 v[12:13], v51
	v_cvt_f64_f32_e32 v[14:15], v23
	v_fmac_f32_e32 v57, v16, v38
	v_fma_f32 v38, v38, v17, -v39
	v_fma_f32 v44, v40, v19, -v41
	v_cvt_f64_f32_e32 v[16:17], v52
	v_cvt_f64_f32_e32 v[18:19], v24
	;; [unrolled: 1-line block ×14, first 2 shown]
	v_mov_b32_e32 v47, v49
	v_lshlrev_b64_e32 v[42:43], 3, v[42:43]
	s_delay_alu instid0(VALU_DEP_2) | instskip(NEXT) | instid1(VALU_DEP_2)
	v_lshlrev_b64_e32 v[46:47], 3, v[46:47]
	v_add_co_u32 v42, vcc_lo, s8, v42
	s_wait_alu 0xfffe
	v_mul_f64_e32 v[0:1], s[0:1], v[0:1]
	v_mul_f64_e32 v[2:3], s[0:1], v[2:3]
	v_add_co_ci_u32_e32 v43, vcc_lo, s9, v43, vcc_lo
	v_mul_f64_e32 v[4:5], s[0:1], v[4:5]
	v_mul_f64_e32 v[6:7], s[0:1], v[6:7]
	v_add_co_u32 v42, vcc_lo, v42, v46
	v_mul_f64_e32 v[8:9], s[0:1], v[8:9]
	v_mul_f64_e32 v[10:11], s[0:1], v[10:11]
	;; [unrolled: 1-line block ×4, first 2 shown]
	s_wait_alu 0xfffd
	v_add_co_ci_u32_e32 v43, vcc_lo, v43, v47, vcc_lo
	v_add_co_u32 v46, vcc_lo, v42, s2
	v_mul_f64_e32 v[16:17], s[0:1], v[16:17]
	v_mul_f64_e32 v[18:19], s[0:1], v[18:19]
	;; [unrolled: 1-line block ×14, first 2 shown]
	s_wait_alu 0xfffd
	v_add_co_ci_u32_e32 v47, vcc_lo, s3, v43, vcc_lo
	v_add_co_u32 v48, vcc_lo, v46, s2
	s_wait_alu 0xfffd
	s_delay_alu instid0(VALU_DEP_2) | instskip(NEXT) | instid1(VALU_DEP_2)
	v_add_co_ci_u32_e32 v49, vcc_lo, s3, v47, vcc_lo
	v_add_co_u32 v50, vcc_lo, v48, s2
	v_cvt_f32_f64_e32 v0, v[0:1]
	v_cvt_f32_f64_e32 v1, v[2:3]
	s_wait_alu 0xfffd
	v_add_co_ci_u32_e32 v51, vcc_lo, s3, v49, vcc_lo
	v_cvt_f32_f64_e32 v2, v[4:5]
	v_cvt_f32_f64_e32 v3, v[6:7]
	v_add_co_u32 v52, vcc_lo, v50, s2
	v_cvt_f32_f64_e32 v4, v[8:9]
	v_cvt_f32_f64_e32 v5, v[10:11]
	;; [unrolled: 1-line block ×4, first 2 shown]
	s_wait_alu 0xfffd
	v_add_co_ci_u32_e32 v53, vcc_lo, s3, v51, vcc_lo
	v_cvt_f32_f64_e32 v8, v[16:17]
	v_cvt_f32_f64_e32 v9, v[18:19]
	;; [unrolled: 1-line block ×14, first 2 shown]
	v_add_co_u32 v22, vcc_lo, v52, s2
	s_wait_alu 0xfffd
	v_add_co_ci_u32_e32 v23, vcc_lo, s3, v53, vcc_lo
	s_delay_alu instid0(VALU_DEP_2) | instskip(SKIP_1) | instid1(VALU_DEP_2)
	v_add_co_u32 v24, vcc_lo, v22, s2
	s_wait_alu 0xfffd
	v_add_co_ci_u32_e32 v25, vcc_lo, s3, v23, vcc_lo
	s_delay_alu instid0(VALU_DEP_2) | instskip(SKIP_1) | instid1(VALU_DEP_2)
	;; [unrolled: 4-line block ×5, first 2 shown]
	v_add_co_u32 v32, vcc_lo, v30, s2
	s_wait_alu 0xfffd
	v_add_co_ci_u32_e32 v33, vcc_lo, s3, v31, vcc_lo
	s_clause 0x4
	global_store_b64 v[42:43], v[0:1], off
	global_store_b64 v[46:47], v[2:3], off
	;; [unrolled: 1-line block ×11, first 2 shown]
.LBB0_23:
	s_nop 0
	s_sendmsg sendmsg(MSG_DEALLOC_VGPRS)
	s_endpgm
	.section	.rodata,"a",@progbits
	.p2align	6, 0x0
	.amdhsa_kernel bluestein_single_fwd_len396_dim1_sp_op_CI_CI
		.amdhsa_group_segment_fixed_size 3168
		.amdhsa_private_segment_fixed_size 0
		.amdhsa_kernarg_size 104
		.amdhsa_user_sgpr_count 2
		.amdhsa_user_sgpr_dispatch_ptr 0
		.amdhsa_user_sgpr_queue_ptr 0
		.amdhsa_user_sgpr_kernarg_segment_ptr 1
		.amdhsa_user_sgpr_dispatch_id 0
		.amdhsa_user_sgpr_private_segment_size 0
		.amdhsa_wavefront_size32 1
		.amdhsa_uses_dynamic_stack 0
		.amdhsa_enable_private_segment 0
		.amdhsa_system_sgpr_workgroup_id_x 1
		.amdhsa_system_sgpr_workgroup_id_y 0
		.amdhsa_system_sgpr_workgroup_id_z 0
		.amdhsa_system_sgpr_workgroup_info 0
		.amdhsa_system_vgpr_workitem_id 0
		.amdhsa_next_free_vgpr 152
		.amdhsa_next_free_sgpr 14
		.amdhsa_reserve_vcc 1
		.amdhsa_float_round_mode_32 0
		.amdhsa_float_round_mode_16_64 0
		.amdhsa_float_denorm_mode_32 3
		.amdhsa_float_denorm_mode_16_64 3
		.amdhsa_fp16_overflow 0
		.amdhsa_workgroup_processor_mode 1
		.amdhsa_memory_ordered 1
		.amdhsa_forward_progress 0
		.amdhsa_round_robin_scheduling 0
		.amdhsa_exception_fp_ieee_invalid_op 0
		.amdhsa_exception_fp_denorm_src 0
		.amdhsa_exception_fp_ieee_div_zero 0
		.amdhsa_exception_fp_ieee_overflow 0
		.amdhsa_exception_fp_ieee_underflow 0
		.amdhsa_exception_fp_ieee_inexact 0
		.amdhsa_exception_int_div_zero 0
	.end_amdhsa_kernel
	.text
.Lfunc_end0:
	.size	bluestein_single_fwd_len396_dim1_sp_op_CI_CI, .Lfunc_end0-bluestein_single_fwd_len396_dim1_sp_op_CI_CI
                                        ; -- End function
	.section	.AMDGPU.csdata,"",@progbits
; Kernel info:
; codeLenInByte = 11384
; NumSgprs: 16
; NumVgprs: 152
; ScratchSize: 0
; MemoryBound: 0
; FloatMode: 240
; IeeeMode: 1
; LDSByteSize: 3168 bytes/workgroup (compile time only)
; SGPRBlocks: 1
; VGPRBlocks: 18
; NumSGPRsForWavesPerEU: 16
; NumVGPRsForWavesPerEU: 152
; Occupancy: 9
; WaveLimiterHint : 1
; COMPUTE_PGM_RSRC2:SCRATCH_EN: 0
; COMPUTE_PGM_RSRC2:USER_SGPR: 2
; COMPUTE_PGM_RSRC2:TRAP_HANDLER: 0
; COMPUTE_PGM_RSRC2:TGID_X_EN: 1
; COMPUTE_PGM_RSRC2:TGID_Y_EN: 0
; COMPUTE_PGM_RSRC2:TGID_Z_EN: 0
; COMPUTE_PGM_RSRC2:TIDIG_COMP_CNT: 0
	.text
	.p2alignl 7, 3214868480
	.fill 96, 4, 3214868480
	.type	__hip_cuid_85ef722f15703357,@object ; @__hip_cuid_85ef722f15703357
	.section	.bss,"aw",@nobits
	.globl	__hip_cuid_85ef722f15703357
__hip_cuid_85ef722f15703357:
	.byte	0                               ; 0x0
	.size	__hip_cuid_85ef722f15703357, 1

	.ident	"AMD clang version 19.0.0git (https://github.com/RadeonOpenCompute/llvm-project roc-6.4.0 25133 c7fe45cf4b819c5991fe208aaa96edf142730f1d)"
	.section	".note.GNU-stack","",@progbits
	.addrsig
	.addrsig_sym __hip_cuid_85ef722f15703357
	.amdgpu_metadata
---
amdhsa.kernels:
  - .args:
      - .actual_access:  read_only
        .address_space:  global
        .offset:         0
        .size:           8
        .value_kind:     global_buffer
      - .actual_access:  read_only
        .address_space:  global
        .offset:         8
        .size:           8
        .value_kind:     global_buffer
      - .actual_access:  read_only
        .address_space:  global
        .offset:         16
        .size:           8
        .value_kind:     global_buffer
      - .actual_access:  read_only
        .address_space:  global
        .offset:         24
        .size:           8
        .value_kind:     global_buffer
      - .actual_access:  read_only
        .address_space:  global
        .offset:         32
        .size:           8
        .value_kind:     global_buffer
      - .offset:         40
        .size:           8
        .value_kind:     by_value
      - .address_space:  global
        .offset:         48
        .size:           8
        .value_kind:     global_buffer
      - .address_space:  global
        .offset:         56
        .size:           8
        .value_kind:     global_buffer
      - .address_space:  global
        .offset:         64
        .size:           8
        .value_kind:     global_buffer
      - .address_space:  global
        .offset:         72
        .size:           8
        .value_kind:     global_buffer
      - .offset:         80
        .size:           4
        .value_kind:     by_value
      - .address_space:  global
        .offset:         88
        .size:           8
        .value_kind:     global_buffer
      - .address_space:  global
        .offset:         96
        .size:           8
        .value_kind:     global_buffer
    .group_segment_fixed_size: 3168
    .kernarg_segment_align: 8
    .kernarg_segment_size: 104
    .language:       OpenCL C
    .language_version:
      - 2
      - 0
    .max_flat_workgroup_size: 44
    .name:           bluestein_single_fwd_len396_dim1_sp_op_CI_CI
    .private_segment_fixed_size: 0
    .sgpr_count:     16
    .sgpr_spill_count: 0
    .symbol:         bluestein_single_fwd_len396_dim1_sp_op_CI_CI.kd
    .uniform_work_group_size: 1
    .uses_dynamic_stack: false
    .vgpr_count:     152
    .vgpr_spill_count: 0
    .wavefront_size: 32
    .workgroup_processor_mode: 1
amdhsa.target:   amdgcn-amd-amdhsa--gfx1201
amdhsa.version:
  - 1
  - 2
...

	.end_amdgpu_metadata
